;; amdgpu-corpus repo=ROCm/aiter kind=harvested arch=n/a opt=n/a

/root/src/amdgpu-assembly/repos/ROCm__aiter/hsa/gfx950/fmoe_2stages/fmoe_stage1_bf16_pertokenFp8_doweight_g1u1_96x64_2tg_pf2.co:	file format elf64-amdgpu

Disassembly of section .text:

0000000000002a00 <_ZN5aiter56fmoe_stage1_bf16_pertokenFp8_doweight_g1u1_96x64_2tg_pf2E>:
	s_and_b32 s1, s1, 0xffff                                   // 000000002A00: 8601FF01 0000FFFF
	s_load_dwordx2 s[8:9], s[0:1], 0x0                         // 000000002A08: C0060200 00000000
	s_load_dwordx2 s[20:21], s[0:1], 0x10                      // 000000002A10: C0060500 00000010
	s_load_dwordx2 s[24:25], s[0:1], 0x20                      // 000000002A18: C0060600 00000020
	s_load_dwordx2 s[48:49], s[0:1], 0x30                      // 000000002A20: C0060C00 00000030
	s_load_dwordx2 s[28:29], s[0:1], 0x40                      // 000000002A28: C0060700 00000040
	s_load_dwordx2 s[32:33], s[0:1], 0x50                      // 000000002A30: C0060800 00000050
	s_load_dwordx2 s[36:37], s[0:1], 0x60                      // 000000002A38: C0060900 00000060
	s_load_dwordx2 s[12:13], s[0:1], 0x70                      // 000000002A40: C0060300 00000070
	s_load_dwordx2 s[44:45], s[0:1], 0x80                      // 000000002A48: C0060B00 00000080
	s_mov_b32 s89, 0                                           // 000000002A50: BED90080
	s_load_dword s64, s[0:1], 0x90                             // 000000002A54: C0021000 00000090
	s_load_dword s65, s[0:1], 0xa0                             // 000000002A5C: C0021040 000000A0
	s_load_dword s66, s[0:1], 0xb0                             // 000000002A64: C0021080 000000B0
	s_load_dword s67, s[0:1], 0xc0                             // 000000002A6C: C00210C0 000000C0
	s_load_dword s68, s[0:1], 0xd0                             // 000000002A74: C0021100 000000D0
	s_load_dword s69, s[0:1], 0xe0                             // 000000002A7C: C0021140 000000E0
	s_load_dword s71, s[0:1], 0xf0                             // 000000002A84: C00211C0 000000F0
	s_load_dword s72, s[0:1], 0x100                            // 000000002A8C: C0021200 00000100
	s_load_dword s74, s[0:1], 0x110                            // 000000002A94: C0021280 00000110
	s_load_dword s76, s[0:1], 0x120                            // 000000002A9C: C0021300 00000120
	s_load_dword s56, s[0:1], 0x130                            // 000000002AA4: C0020E00 00000130
	s_load_dword s88, s[0:1], 0x140                            // 000000002AAC: C0021600 00000140
	s_load_dword s89, s[0:1], 0x150                            // 000000002AB4: C0021640 00000150
	s_load_dwordx2 s[40:41], s[0:1], 0x160                     // 000000002ABC: C0060A00 00000160
	v_lshrrev_b32_e32 v1, 10, v0                               // 000000002AC4: 2002008A
	v_lshrrev_b32_e32 v2, 10, v1                               // 000000002AC8: 2004028A
	v_and_b32_e32 v2, 0x3ff, v2                                // 000000002ACC: 260404FF 000003FF
	v_and_b32_e32 v1, 0x3ff, v1                                // 000000002AD4: 260202FF 000003FF
	v_and_b32_e32 v0, 0x3ff, v0                                // 000000002ADC: 260000FF 000003FF
	v_lshrrev_b32_e32 v3, 6, v0                                // 000000002AE4: 20060086
	v_and_b32_e32 v0, 63, v0                                   // 000000002AE8: 260000BF
	s_mov_b32 s2, s2                                           // 000000002AEC: BE820002
	s_mov_b32 s3, s3                                           // 000000002AF0: BE830003
	s_mov_b32 s4, s4                                           // 000000002AF4: BE840004
	v_readfirstlane_b32 s7, v3                                 // 000000002AF8: 7E0E0503
	s_waitcnt lgkmcnt(0)                                       // 000000002AFC: BF8CC07F
	s_and_b32 s49, s49, 0xffff                                 // 000000002B00: 8631FF31 0000FFFF
	s_load_dword s48, s[48:49], 0x0                            // 000000002B08: C0020C18 00000000
	s_and_b32 s45, s45, 0xffff                                 // 000000002B10: 862DFF2D 0000FFFF
	s_and_b32 s9, s9, 0xffff                                   // 000000002B18: 8609FF09 0000FFFF
	s_mul_i32 s60, s66, s68                                    // 000000002B20: 923C4442
	s_mul_i32 s61, s66, 4                                      // 000000002B24: 923D8442
	s_mov_b32 s22, s60                                         // 000000002B28: BE96003C
	s_mov_b32 s26, -16                                         // 000000002B2C: BE9A00D0
	s_mov_b32 s30, s61                                         // 000000002B30: BE9E003D
	s_mov_b32 s14, 0x180                                       // 000000002B34: BE8E00FF 00000180
	s_mov_b32 s38, -16                                         // 000000002B3C: BEA600D0
	s_mov_b32 s10, -16                                         // 000000002B40: BE8A00D0
	s_mov_b32 s34, 0x100                                       // 000000002B44: BEA200FF 00000100
	s_mov_b32 s23, 0x20000                                     // 000000002B4C: BE9700FF 00020000
	s_mov_b32 s27, 0x20000                                     // 000000002B54: BE9B00FF 00020000
	s_mov_b32 s31, 0x20000                                     // 000000002B5C: BE9F00FF 00020000
	s_mov_b32 s35, 0x20000                                     // 000000002B64: BEA300FF 00020000
	s_mov_b32 s15, 0x20000                                     // 000000002B6C: BE8F00FF 00020000
	s_mov_b32 s39, 0x20000                                     // 000000002B74: BEA700FF 00020000
	s_mov_b32 s11, 0x20000                                     // 000000002B7C: BE8B00FF 00020000
	s_and_b32 s21, s21, 0xffff                                 // 000000002B84: 8615FF15 0000FFFF
	s_and_b32 s25, s25, 0xffff                                 // 000000002B8C: 8619FF19 0000FFFF
	s_and_b32 s29, s29, 0xffff                                 // 000000002B94: 861DFF1D 0000FFFF
	s_and_b32 s33, s33, 0xffff                                 // 000000002B9C: 8621FF21 0000FFFF
	s_and_b32 s13, s13, 0xffff                                 // 000000002BA4: 860DFF0D 0000FFFF
	s_and_b32 s37, s37, 0xffff                                 // 000000002BAC: 8625FF25 0000FFFF
	s_or_b32 s21, s21, 0x40000                                 // 000000002BB4: 8715FF15 00040000
	s_or_b32 s25, s25, 0x40000                                 // 000000002BBC: 8719FF19 00040000
	s_or_b32 s29, s29, 0x40000                                 // 000000002BC4: 871DFF1D 00040000
	s_or_b32 s33, s33, 0x40000                                 // 000000002BCC: 8721FF21 00040000
	s_or_b32 s13, s13, 0x40000                                 // 000000002BD4: 870DFF0D 00040000
	s_or_b32 s37, s37, 0x40000                                 // 000000002BDC: 8725FF25 00040000
	s_mov_b32 s42, -16                                         // 000000002BE4: BEAA00D0
	s_mov_b32 s43, 0x20000                                     // 000000002BE8: BEAB00FF 00020000
	s_and_b32 s41, s41, 0xffff                                 // 000000002BF0: 8629FF29 0000FFFF
	s_or_b32 s41, s41, 0x40000                                 // 000000002BF8: 8729FF29 00040000
	v_accvgpr_write_b32 a111, 0                                // 000000002C00: D3D9406F 18000080
	v_mov_b32_e32 v121, 0                                      // 000000002C08: 7EF20280
	s_waitcnt lgkmcnt(0)                                       // 000000002C0C: BF8CC07F
	s_mul_i32 s60, s3, 0x60                                    // 000000002C10: 923CFF03 00000060
	s_cmp_lt_i32 s60, s48                                      // 000000002C18: BF04303C
	s_cbranch_scc0 label_1A83                                  // 000000002C1C: BF8419F8
	s_mov_b32 s80, 0                                           // 000000002C20: BED00080
	s_lshr_b32 s81, s64, s88                                   // 000000002C24: 8F515840
	s_mul_i32 s60, s3, 4                                       // 000000002C28: 923C8403
	s_add_u32 s44, s60, s44                                    // 000000002C2C: 802C2C3C
	s_addc_u32 s45, 0, s45                                     // 000000002C30: 822D2D80
	s_load_dword s5, s[44:45], 0x0                             // 000000002C34: C0020156 00000000
	s_mul_i32 s60, s3, 0x60                                    // 000000002C3C: 923CFF03 00000060
	s_mul_i32 s60, 4, s60                                      // 000000002C44: 923C3C84
	s_add_u32 s12, s60, s12                                    // 000000002C48: 800C0C3C
	s_addc_u32 s13, 0, s13                                     // 000000002C4C: 820D0D80
	v_and_b32_e32 v4, 15, v0                                   // 000000002C50: 2608008F
	v_lshlrev_b32_e32 v4, 2, v4                                // 000000002C54: 24080882
	buffer_load_dword v28, v4, s[12:15], 0 offen               // 000000002C58: E0501000 80031C04
	v_add_u32_e32 v4, 64, v4                                   // 000000002C60: 680808C0
	buffer_load_dword v29, v4, s[12:15], 0 offen               // 000000002C64: E0501000 80031D04
	v_add_u32_e32 v4, 64, v4                                   // 000000002C6C: 680808C0
	buffer_load_dword v30, v4, s[12:15], 0 offen               // 000000002C70: E0501000 80031E04
	v_add_u32_e32 v4, 64, v4                                   // 000000002C78: 680808C0
	buffer_load_dword v31, v4, s[12:15], 0 offen               // 000000002C7C: E0501000 80031F04
	v_add_u32_e32 v4, 64, v4                                   // 000000002C84: 680808C0
	buffer_load_dword v32, v4, s[12:15], 0 offen               // 000000002C88: E0501000 80032004
	v_add_u32_e32 v4, 64, v4                                   // 000000002C90: 680808C0
	buffer_load_dword v33, v4, s[12:15], 0 offen               // 000000002C94: E0501000 80032104
	v_add_u32_e32 v4, 64, v4                                   // 000000002C9C: 680808C0
	s_mul_i32 s60, 4, s7                                       // 000000002CA0: 923C0784
	v_lshlrev_b32_e32 v4, 4, v0                                // 000000002CA4: 24080084
	v_add_u32_e32 v4, s60, v4                                  // 000000002CA8: 6808083C
	buffer_load_dword v3, v4, s[12:15], 0 offen                // 000000002CAC: E0501000 80030304
	v_mov_b32_e32 v68, 0                                       // 000000002CB4: 7E880280
	v_mov_b32_e32 v92, 0                                       // 000000002CB8: 7EB80280
	v_mov_b32_e32 v69, 0                                       // 000000002CBC: 7E8A0280
	v_mov_b32_e32 v93, 0                                       // 000000002CC0: 7EBA0280
	v_mov_b32_e32 v70, 0                                       // 000000002CC4: 7E8C0280
	v_mov_b32_e32 v94, 0                                       // 000000002CC8: 7EBC0280
	v_mov_b32_e32 v71, 0                                       // 000000002CCC: 7E8E0280
	v_mov_b32_e32 v95, 0                                       // 000000002CD0: 7EBE0280
	v_mov_b32_e32 v72, 0                                       // 000000002CD4: 7E900280
	v_mov_b32_e32 v96, 0                                       // 000000002CD8: 7EC00280
	v_mov_b32_e32 v73, 0                                       // 000000002CDC: 7E920280
	v_mov_b32_e32 v97, 0                                       // 000000002CE0: 7EC20280
	v_mov_b32_e32 v74, 0                                       // 000000002CE4: 7E940280
	v_mov_b32_e32 v98, 0                                       // 000000002CE8: 7EC40280
	v_mov_b32_e32 v75, 0                                       // 000000002CEC: 7E960280
	v_mov_b32_e32 v99, 0                                       // 000000002CF0: 7EC60280
	v_mov_b32_e32 v76, 0                                       // 000000002CF4: 7E980280
	v_mov_b32_e32 v100, 0                                      // 000000002CF8: 7EC80280
	v_mov_b32_e32 v77, 0                                       // 000000002CFC: 7E9A0280
	v_mov_b32_e32 v101, 0                                      // 000000002D00: 7ECA0280
	v_mov_b32_e32 v78, 0                                       // 000000002D04: 7E9C0280
	v_mov_b32_e32 v102, 0                                      // 000000002D08: 7ECC0280
	v_mov_b32_e32 v79, 0                                       // 000000002D0C: 7E9E0280
	v_mov_b32_e32 v103, 0                                      // 000000002D10: 7ECE0280
	v_mov_b32_e32 v80, 0                                       // 000000002D14: 7EA00280
	v_mov_b32_e32 v104, 0                                      // 000000002D18: 7ED00280
	v_mov_b32_e32 v81, 0                                       // 000000002D1C: 7EA20280
	v_mov_b32_e32 v105, 0                                      // 000000002D20: 7ED20280
	v_mov_b32_e32 v82, 0                                       // 000000002D24: 7EA40280
	v_mov_b32_e32 v106, 0                                      // 000000002D28: 7ED40280
	v_mov_b32_e32 v83, 0                                       // 000000002D2C: 7EA60280
	v_mov_b32_e32 v107, 0                                      // 000000002D30: 7ED60280
	v_mov_b32_e32 v84, 0                                       // 000000002D34: 7EA80280
	v_mov_b32_e32 v108, 0                                      // 000000002D38: 7ED80280
	v_mov_b32_e32 v85, 0                                       // 000000002D3C: 7EAA0280
	v_mov_b32_e32 v109, 0                                      // 000000002D40: 7EDA0280
	v_mov_b32_e32 v86, 0                                       // 000000002D44: 7EAC0280
	v_mov_b32_e32 v110, 0                                      // 000000002D48: 7EDC0280
	v_mov_b32_e32 v87, 0                                       // 000000002D4C: 7EAE0280
	v_mov_b32_e32 v111, 0                                      // 000000002D50: 7EDE0280
	v_mov_b32_e32 v88, 0                                       // 000000002D54: 7EB00280
	v_mov_b32_e32 v112, 0                                      // 000000002D58: 7EE00280
	v_mov_b32_e32 v89, 0                                       // 000000002D5C: 7EB20280
	v_mov_b32_e32 v113, 0                                      // 000000002D60: 7EE20280
	v_mov_b32_e32 v90, 0                                       // 000000002D64: 7EB40280
	v_mov_b32_e32 v114, 0                                      // 000000002D68: 7EE40280
	v_mov_b32_e32 v91, 0                                       // 000000002D6C: 7EB60280
	v_mov_b32_e32 v115, 0                                      // 000000002D70: 7EE60280
	s_mul_i32 s60, s2, 0x80                                    // 000000002D74: 923CFF02 00000080
	s_cmp_eq_u32 s88, 0                                        // 000000002D7C: BF068058
	s_cselect_b32 s61, 1, 2                                    // 000000002D80: 853D8281
	s_mul_i32 s60, s60, s61                                    // 000000002D84: 923C3D3C
	s_mov_b32 s90, s8                                          // 000000002D88: BEDA0008
	s_mov_b32 s91, s9                                          // 000000002D8C: BEDB0009
	s_add_u32 s8, s60, s8                                      // 000000002D90: 8008083C
	s_addc_u32 s9, 0, s9                                       // 000000002D94: 82090980
	v_lshrrev_b32_e32 v4, 4, v0                                // 000000002D98: 20080084
	v_mul_lo_u32 v20, 34, v4                                   // 000000002D9C: D2850014 000208A2
	v_and_b32_e32 v4, 15, v0                                   // 000000002DA4: 2608008F
	v_mul_lo_u32 v5, 2, v4                                     // 000000002DA8: D2850005 00020882
	v_add_u32_e32 v20, v5, v20                                 // 000000002DB0: 68282905
	s_mul_i32 s60, s7, 0x88                                    // 000000002DB4: 923CFF07 00000088
	v_add_u32_e32 v20, s60, v20                                // 000000002DBC: 6828283C
	v_lshlrev_b32_e32 v20, 2, v20                              // 000000002DC0: 24282882
	v_and_b32_e32 v4, 31, v0                                   // 000000002DC4: 2608009F
	v_lshrrev_b32_e32 v4, 1, v4                                // 000000002DC8: 20080881
	v_mul_lo_u32 v21, 34, v4                                   // 000000002DCC: D2850015 000208A2
	v_lshrrev_b32_e32 v4, 5, v0                                // 000000002DD4: 20080085
	v_mul_lo_u32 v4, 8, v4                                     // 000000002DD8: D2850004 00020888
	v_add_u32_e32 v21, v21, v4                                 // 000000002DE0: 682A0915
	v_and_b32_e32 v5, 1, v0                                    // 000000002DE4: 260A0081
	v_add_u32_e32 v21, v5, v21                                 // 000000002DE8: 682A2B05
	s_mul_i32 s60, s7, 2                                       // 000000002DEC: 923C8207
	v_add_u32_e32 v21, s60, v21                                // 000000002DF0: 682A2A3C
	v_lshlrev_b32_e32 v21, 2, v21                              // 000000002DF4: 242A2A82
	s_mul_i32 s60, s7, 0xc20                                   // 000000002DF8: 923CFF07 00000C20
	s_add_u32 s48, 0, s60                                      // 000000002E00: 80303C80
	s_add_u32 s49, 0x3080, s48                                 // 000000002E04: 803130FF 00003080
	v_lshrrev_b32_e32 v4, 4, v0                                // 000000002E0C: 20080084
	v_lshlrev_b32_e32 v5, 2, v4                                // 000000002E10: 240A0882
	v_and_b32_e32 v4, 15, v0                                   // 000000002E14: 2608008F
	v_lshrrev_b32_e32 v6, 2, v4                                // 000000002E18: 200C0882
	v_lshlrev_b32_e32 v6, 5, v6                                // 000000002E1C: 240C0C85
	v_add_u32_e32 v5, v6, v5                                   // 000000002E20: 680A0B06
	v_and_b32_e32 v4, 3, v0                                    // 000000002E24: 26080083
	v_mul_u32_u24_e32 v6, 0x308, v4                            // 000000002E28: 100C08FF 00000308
	v_add_u32_e32 v5, v6, v5                                   // 000000002E30: 680A0B06
	v_lshlrev_b32_e32 v2, 2, v5                                // 000000002E34: 24040A82
	s_waitcnt lgkmcnt(0)                                       // 000000002E38: BF8CC07F
	s_mul_i32 s60, s2, 64                                      // 000000002E3C: 923CC002
	s_mul_i32 s60, s60, s69                                    // 000000002E40: 923C453C
	s_mul_i32 s61, s5, s72                                     // 000000002E44: 923D4805
	s_add_u32 s60, s61, s60                                    // 000000002E48: 803C3C3D
	s_add_u32 s24, s60, s24                                    // 000000002E4C: 8018183C
	s_addc_u32 s25, 0, s25                                     // 000000002E50: 82191980
	s_lshr_b32 s60, s64, s88                                   // 000000002E54: 8F3C5840
	s_mul_i32 s60, s4, s60                                     // 000000002E58: 923C3C04
	s_lshr_b32 s60, s60, 7                                     // 000000002E5C: 8F3C873C
	s_mul_i32 s60, s60, 0x800                                  // 000000002E60: 923CFF3C 00000800
	s_add_u32 s24, s60, s24                                    // 000000002E68: 8018183C
	s_addc_u32 s25, 0, s25                                     // 000000002E6C: 82191980
	s_lshr_b32 s60, s69, s88                                   // 000000002E70: 8F3C5845
	s_mul_i32 s60, s4, s60                                     // 000000002E74: 923C3C04
	s_add_u32 s20, s60, s20                                    // 000000002E78: 8014143C
	s_addc_u32 s21, 0, s21                                     // 000000002E7C: 82151580
	s_mul_i32 s60, s7, 16                                      // 000000002E80: 923C9007
	s_mul_i32 s60, s60, s69                                    // 000000002E84: 923C453C
	v_lshlrev_b32_e32 v64, 4, v0                               // 000000002E88: 24800084
	v_add_u32_e32 v64, s60, v64                                // 000000002E8C: 6880803C
	s_mul_i32 s60, 64, s69                                     // 000000002E90: 923C45C0
	s_mov_b32 s84, s24                                         // 000000002E94: BED40018
	s_mov_b32 s85, s25                                         // 000000002E98: BED50019
	s_mov_b32 s86, s26                                         // 000000002E9C: BED6001A
	s_mov_b32 s87, s27                                         // 000000002EA0: BED7001B
	s_mul_i32 s60, s69, s65                                    // 000000002EA4: 923C4145
	s_add_u32 s84, s60, s84                                    // 000000002EA8: 8054543C
	s_addc_u32 s85, 0, s85                                     // 000000002EAC: 82555580
	v_lshrrev_b32_e32 v4, 4, v0                                // 000000002EB0: 20080084
	v_lshlrev_b32_e32 v5, 2, v4                                // 000000002EB4: 240A0882
	v_and_b32_e32 v4, 15, v0                                   // 000000002EB8: 2608008F
	v_lshrrev_b32_e32 v6, 2, v4                                // 000000002EBC: 200C0882
	v_lshlrev_b32_e32 v6, 6, v6                                // 000000002EC0: 240C0C86
	v_add_u32_e32 v5, v6, v5                                   // 000000002EC4: 680A0B06
	v_and_b32_e32 v4, 3, v0                                    // 000000002EC8: 26080083
	v_add_u32_e32 v5, v4, v5                                   // 000000002ECC: 680A0B04
	v_lshlrev_b32_e32 v22, 2, v5                               // 000000002ED0: 242C0A82
	s_mul_i32 s60, s7, 16                                      // 000000002ED4: 923C9007
	s_mul_i32 s60, s60, 4                                      // 000000002ED8: 923C843C
	v_add_u32_e32 v22, s60, v22                                // 000000002EDC: 682C2C3C
	s_mul_i32 s60, s2, 64                                      // 000000002EE0: 923CC002
	s_mul_i32 s60, s60, 4                                      // 000000002EE4: 923C843C
	s_mul_i32 s61, s5, s74                                     // 000000002EE8: 923D4A05
	s_add_u32 s61, s61, s60                                    // 000000002EEC: 803D3C3D
	s_add_u32 s32, s61, s32                                    // 000000002EF0: 8020203D
	s_addc_u32 s33, 0, s33                                     // 000000002EF4: 82212180
	s_mov_b32 s57, 0x80                                        // 000000002EF8: BEB900FF 00000080
	s_mov_b32 s58, 0x800                                       // 000000002F00: BEBA00FF 00000800
	s_mov_b32 s83, s58                                         // 000000002F08: BED3003A
	s_mov_b32 s52, 0x7060302                                   // 000000002F0C: BEB400FF 07060302
	s_mov_b32 s53, 0x400                                       // 000000002F14: BEB500FF 00000400
	s_mov_b32 s54, 0x40100                                     // 000000002F1C: BEB600FF 00040100
	s_mov_b32 s55, 0x4020100                                   // 000000002F24: BEB700FF 04020100
	s_mov_b32 s6, 0x3fb8aa3b                                   // 000000002F2C: BE8600FF 3FB8AA3B
	s_mov_b32 s78, 0xbd92220c                                  // 000000002F34: BECE00FF BD92220C
	s_mov_b32 s79, 0xbd92220c                                  // 000000002F3C: BECF00FF BD92220C
	s_mov_b32 m0, s48                                          // 000000002F44: BEFC0030
	v_mov_b32_e32 v1, 0xbfcc4231                               // 000000002F48: 7E0202FF BFCC4231
	v_mov_b32_e32 v17, 0xffff0000                              // 000000002F50: 7E2202FF FFFF0000
	v_mov_b32_e32 v18, 0x7fff0000                              // 000000002F58: 7E2402FF 7FFF0000
	v_mov_b32_e32 v19, 0x7fff                                  // 000000002F60: 7E2602FF 00007FFF
	s_waitcnt vmcnt(0) expcnt(0) lgkmcnt(0)                    // 000000002F68: BF8C0000
	s_mul_i32 s60, s3, 0x60                                    // 000000002F6C: 923CFF03 00000060
	s_mul_i32 s60, 4, s60                                      // 000000002F74: 923C3C84
	s_add_u32 s40, s60, s40                                    // 000000002F78: 8028283C
	s_addc_u32 s41, 0, s41                                     // 000000002F7C: 82292980
	v_and_b32_e32 v4, 15, v0                                   // 000000002F80: 2608008F
	v_lshlrev_b32_e32 v4, 2, v4                                // 000000002F84: 24080882
	buffer_load_dword v116, v4, s[40:43], 0 offen              // 000000002F88: E0501000 800A7404
	buffer_load_dword v117, v4, s[40:43], 0 offen offset:64    // 000000002F90: E0501040 800A7504
	buffer_load_dword v118, v4, s[40:43], 0 offen offset:128   // 000000002F98: E0501080 800A7604
	buffer_load_dword v119, v4, s[40:43], 0 offen offset:192   // 000000002FA0: E05010C0 800A7704
	buffer_load_dword v120, v4, s[40:43], 0 offen offset:256   // 000000002FA8: E0501100 800A7804
	buffer_load_dword v121, v4, s[40:43], 0 offen offset:320   // 000000002FB0: E0501140 800A7904
	v_lshrrev_b32_e32 v4, 5, v0                                // 000000002FB8: 20080085
	v_xor_b32_e32 v5, 1, v4                                    // 000000002FBC: 2A0A0881
	v_readlane_b32 s82, v3, 0                                  // 000000002FC0: D2890052 00010103
	s_and_b32 s82, s82, 0xffffff                               // 000000002FC8: 8652FF52 00FFFFFF
	v_mul_lo_u32 v6, v5, s82                                   // 000000002FD0: D2850006 0000A505
	v_readlane_b32 s82, v3, 1                                  // 000000002FD8: D2890052 00010303
	s_and_b32 s82, s82, 0xffffff                               // 000000002FE0: 8652FF52 00FFFFFF
	v_mul_lo_u32 v7, v4, s82                                   // 000000002FE8: D2850007 0000A504
	v_add_u32_e32 v52, v6, v7                                  // 000000002FF0: 68680F06
	v_mul_lo_u32 v52, v52, s68                                 // 000000002FF4: D2850034 00008934
	v_readlane_b32 s82, v3, 2                                  // 000000002FFC: D2890052 00010503
	s_and_b32 s82, s82, 0xffffff                               // 000000003004: 8652FF52 00FFFFFF
	v_mul_lo_u32 v6, v5, s82                                   // 00000000300C: D2850006 0000A505
	v_readlane_b32 s82, v3, 3                                  // 000000003014: D2890052 00010703
	s_and_b32 s82, s82, 0xffffff                               // 00000000301C: 8652FF52 00FFFFFF
	v_mul_lo_u32 v7, v4, s82                                   // 000000003024: D2850007 0000A504
	v_add_u32_e32 v53, v6, v7                                  // 00000000302C: 686A0F06
	v_mul_lo_u32 v53, v53, s68                                 // 000000003030: D2850035 00008935
	v_readlane_b32 s82, v3, 4                                  // 000000003038: D2890052 00010903
	s_and_b32 s82, s82, 0xffffff                               // 000000003040: 8652FF52 00FFFFFF
	v_mul_lo_u32 v6, v5, s82                                   // 000000003048: D2850006 0000A505
	v_readlane_b32 s82, v3, 5                                  // 000000003050: D2890052 00010B03
	s_and_b32 s82, s82, 0xffffff                               // 000000003058: 8652FF52 00FFFFFF
	v_mul_lo_u32 v7, v4, s82                                   // 000000003060: D2850007 0000A504
	v_add_u32_e32 v54, v6, v7                                  // 000000003068: 686C0F06
	v_mul_lo_u32 v54, v54, s68                                 // 00000000306C: D2850036 00008936
	v_readlane_b32 s82, v3, 6                                  // 000000003074: D2890052 00010D03
	s_and_b32 s82, s82, 0xffffff                               // 00000000307C: 8652FF52 00FFFFFF
	v_mul_lo_u32 v6, v5, s82                                   // 000000003084: D2850006 0000A505
	v_readlane_b32 s82, v3, 7                                  // 00000000308C: D2890052 00010F03
	s_and_b32 s82, s82, 0xffffff                               // 000000003094: 8652FF52 00FFFFFF
	v_mul_lo_u32 v7, v4, s82                                   // 00000000309C: D2850007 0000A504
	v_add_u32_e32 v55, v6, v7                                  // 0000000030A4: 686E0F06
	v_mul_lo_u32 v55, v55, s68                                 // 0000000030A8: D2850037 00008937
	v_readlane_b32 s82, v3, 8                                  // 0000000030B0: D2890052 00011103
	s_and_b32 s82, s82, 0xffffff                               // 0000000030B8: 8652FF52 00FFFFFF
	v_mul_lo_u32 v6, v5, s82                                   // 0000000030C0: D2850006 0000A505
	v_readlane_b32 s82, v3, 9                                  // 0000000030C8: D2890052 00011303
	s_and_b32 s82, s82, 0xffffff                               // 0000000030D0: 8652FF52 00FFFFFF
	v_mul_lo_u32 v7, v4, s82                                   // 0000000030D8: D2850007 0000A504
	v_add_u32_e32 v56, v6, v7                                  // 0000000030E0: 68700F06
	v_mul_lo_u32 v56, v56, s68                                 // 0000000030E4: D2850038 00008938
	v_readlane_b32 s82, v3, 10                                 // 0000000030EC: D2890052 00011503
	s_and_b32 s82, s82, 0xffffff                               // 0000000030F4: 8652FF52 00FFFFFF
	v_mul_lo_u32 v6, v5, s82                                   // 0000000030FC: D2850006 0000A505
	v_readlane_b32 s82, v3, 11                                 // 000000003104: D2890052 00011703
	s_and_b32 s82, s82, 0xffffff                               // 00000000310C: 8652FF52 00FFFFFF
	v_mul_lo_u32 v7, v4, s82                                   // 000000003114: D2850007 0000A504
	v_add_u32_e32 v57, v6, v7                                  // 00000000311C: 68720F06
	v_mul_lo_u32 v57, v57, s68                                 // 000000003120: D2850039 00008939
	v_readlane_b32 s82, v3, 12                                 // 000000003128: D2890052 00011903
	s_and_b32 s82, s82, 0xffffff                               // 000000003130: 8652FF52 00FFFFFF
	v_mul_lo_u32 v6, v5, s82                                   // 000000003138: D2850006 0000A505
	v_readlane_b32 s82, v3, 13                                 // 000000003140: D2890052 00011B03
	s_and_b32 s82, s82, 0xffffff                               // 000000003148: 8652FF52 00FFFFFF
	v_mul_lo_u32 v7, v4, s82                                   // 000000003150: D2850007 0000A504
	v_add_u32_e32 v58, v6, v7                                  // 000000003158: 68740F06
	v_mul_lo_u32 v58, v58, s68                                 // 00000000315C: D285003A 0000893A
	v_readlane_b32 s82, v3, 14                                 // 000000003164: D2890052 00011D03
	s_and_b32 s82, s82, 0xffffff                               // 00000000316C: 8652FF52 00FFFFFF
	v_mul_lo_u32 v6, v5, s82                                   // 000000003174: D2850006 0000A505
	v_readlane_b32 s82, v3, 15                                 // 00000000317C: D2890052 00011F03
	s_and_b32 s82, s82, 0xffffff                               // 000000003184: 8652FF52 00FFFFFF
	v_mul_lo_u32 v7, v4, s82                                   // 00000000318C: D2850007 0000A504
	v_add_u32_e32 v59, v6, v7                                  // 000000003194: 68760F06
	v_mul_lo_u32 v59, v59, s68                                 // 000000003198: D285003B 0000893B
	v_readlane_b32 s82, v3, 16                                 // 0000000031A0: D2890052 00012103
	s_and_b32 s82, s82, 0xffffff                               // 0000000031A8: 8652FF52 00FFFFFF
	v_mul_lo_u32 v6, v5, s82                                   // 0000000031B0: D2850006 0000A505
	v_readlane_b32 s82, v3, 17                                 // 0000000031B8: D2890052 00012303
	s_and_b32 s82, s82, 0xffffff                               // 0000000031C0: 8652FF52 00FFFFFF
	v_mul_lo_u32 v7, v4, s82                                   // 0000000031C8: D2850007 0000A504
	v_add_u32_e32 v60, v6, v7                                  // 0000000031D0: 68780F06
	v_mul_lo_u32 v60, v60, s68                                 // 0000000031D4: D285003C 0000893C
	v_readlane_b32 s82, v3, 18                                 // 0000000031DC: D2890052 00012503
	s_and_b32 s82, s82, 0xffffff                               // 0000000031E4: 8652FF52 00FFFFFF
	v_mul_lo_u32 v6, v5, s82                                   // 0000000031EC: D2850006 0000A505
	v_readlane_b32 s82, v3, 19                                 // 0000000031F4: D2890052 00012703
	s_and_b32 s82, s82, 0xffffff                               // 0000000031FC: 8652FF52 00FFFFFF
	v_mul_lo_u32 v7, v4, s82                                   // 000000003204: D2850007 0000A504
	v_add_u32_e32 v61, v6, v7                                  // 00000000320C: 687A0F06
	v_mul_lo_u32 v61, v61, s68                                 // 000000003210: D285003D 0000893D
	v_readlane_b32 s82, v3, 20                                 // 000000003218: D2890052 00012903
	s_and_b32 s82, s82, 0xffffff                               // 000000003220: 8652FF52 00FFFFFF
	v_mul_lo_u32 v6, v5, s82                                   // 000000003228: D2850006 0000A505
	v_readlane_b32 s82, v3, 21                                 // 000000003230: D2890052 00012B03
	s_and_b32 s82, s82, 0xffffff                               // 000000003238: 8652FF52 00FFFFFF
	v_mul_lo_u32 v7, v4, s82                                   // 000000003240: D2850007 0000A504
	v_add_u32_e32 v62, v6, v7                                  // 000000003248: 687C0F06
	v_mul_lo_u32 v62, v62, s68                                 // 00000000324C: D285003E 0000893E
	v_readlane_b32 s82, v3, 22                                 // 000000003254: D2890052 00012D03
	s_and_b32 s82, s82, 0xffffff                               // 00000000325C: 8652FF52 00FFFFFF
	v_mul_lo_u32 v6, v5, s82                                   // 000000003264: D2850006 0000A505
	v_readlane_b32 s82, v3, 23                                 // 00000000326C: D2890052 00012F03
	s_and_b32 s82, s82, 0xffffff                               // 000000003274: 8652FF52 00FFFFFF
	v_mul_lo_u32 v7, v4, s82                                   // 00000000327C: D2850007 0000A504
	v_add_u32_e32 v63, v6, v7                                  // 000000003284: 687E0F06
	v_mul_lo_u32 v63, v63, s68                                 // 000000003288: D285003F 0000893F
	v_and_b32_e32 v4, 31, v0                                   // 000000003290: 2608009F
	v_lshlrev_b32_e32 v4, 2, v4                                // 000000003294: 24080882
	v_add_u32_e32 v52, v52, v4                                 // 000000003298: 68680934
	v_add_u32_e32 v53, v53, v4                                 // 00000000329C: 686A0935
	v_add_u32_e32 v54, v54, v4                                 // 0000000032A0: 686C0936
	v_add_u32_e32 v55, v55, v4                                 // 0000000032A4: 686E0937
	v_add_u32_e32 v56, v56, v4                                 // 0000000032A8: 68700938
	v_add_u32_e32 v57, v57, v4                                 // 0000000032AC: 68720939
	v_add_u32_e32 v58, v58, v4                                 // 0000000032B0: 6874093A
	v_add_u32_e32 v59, v59, v4                                 // 0000000032B4: 6876093B
	v_add_u32_e32 v60, v60, v4                                 // 0000000032B8: 6878093C
	v_add_u32_e32 v61, v61, v4                                 // 0000000032BC: 687A093D
	v_add_u32_e32 v62, v62, v4                                 // 0000000032C0: 687C093E
	v_add_u32_e32 v63, v63, v4                                 // 0000000032C4: 687E093F
	v_and_b32_e32 v28, 0xffffff, v28                           // 0000000032C8: 263838FF 00FFFFFF
	v_lshlrev_b32_e32 v28, 2, v28                              // 0000000032D0: 24383882
	v_and_b32_e32 v29, 0xffffff, v29                           // 0000000032D4: 263A3AFF 00FFFFFF
	v_lshlrev_b32_e32 v29, 2, v29                              // 0000000032DC: 243A3A82
	v_and_b32_e32 v30, 0xffffff, v30                           // 0000000032E0: 263C3CFF 00FFFFFF
	v_lshlrev_b32_e32 v30, 2, v30                              // 0000000032E8: 243C3C82
	v_and_b32_e32 v31, 0xffffff, v31                           // 0000000032EC: 263E3EFF 00FFFFFF
	v_lshlrev_b32_e32 v31, 2, v31                              // 0000000032F4: 243E3E82
	v_and_b32_e32 v32, 0xffffff, v32                           // 0000000032F8: 264040FF 00FFFFFF
	v_lshlrev_b32_e32 v32, 2, v32                              // 000000003300: 24404082
	v_and_b32_e32 v33, 0xffffff, v33                           // 000000003304: 264242FF 00FFFFFF
	v_lshlrev_b32_e32 v33, 2, v33                              // 00000000330C: 24424282
	s_lshl_b32 s3, s66, 2                                      // 000000003310: 8E038242
	buffer_load_dword v34, v28, s[28:31], 0 offen              // 000000003314: E0501000 8007221C
	buffer_load_dword v35, v29, s[28:31], 0 offen              // 00000000331C: E0501000 8007231D
	buffer_load_dword v36, v30, s[28:31], 0 offen              // 000000003324: E0501000 8007241E
	buffer_load_dword v37, v31, s[28:31], 0 offen              // 00000000332C: E0501000 8007251F
	buffer_load_dword v38, v32, s[28:31], 0 offen              // 000000003334: E0501000 80072620
	buffer_load_dword v39, v33, s[28:31], 0 offen              // 00000000333C: E0501000 80072721
	buffer_load_dword v24, v22, s[32:35], 0 offen              // 000000003344: E0501000 80081816
	s_mul_i32 s60, 4, s65                                      // 00000000334C: 923C4184
	s_add_u32 s32, s60, s32                                    // 000000003350: 8020203C
	s_addc_u32 s33, 0, s33                                     // 000000003354: 82212180
	buffer_load_dword v26, v22, s[32:35], 0 offen              // 000000003358: E0501000 80081A16
	buffer_load_dword v52, s[20:23], 0 offen lds               // 000000003360: E0511000 80050034
	s_add_u32 m0, 0x100, s48                                   // 000000003368: 807C30FF 00000100
	buffer_load_dword v53, s[20:23], 0 offen lds               // 000000003370: E0511000 80050035
	s_add_u32 m0, 0x200, s48                                   // 000000003378: 807C30FF 00000200
	;; [unrolled: 2-line block ×4, first 2 shown]
	buffer_load_dword v56, s[20:23], 0 offen lds               // 0000000033A0: E0511000 80050038
	s_add_u32 m0, 0x500, s48                                   // 0000000033A8: 807C30FF 00000500
	buffer_load_dword v57, s[20:23], 0 offen lds               // 0000000033B0: E0511000 80050039
	s_add_u32 m0, 0x600, s48                                   // 0000000033B8: 807C30FF 00000600
	buffer_load_dword v58, s[20:23], 0 offen lds               // 0000000033C0: E0511000 8005003A
	s_add_u32 m0, 0x700, s48                                   // 0000000033C8: 807C30FF 00000700
	buffer_load_dword v59, s[20:23], 0 offen lds               // 0000000033D0: E0511000 8005003B
	s_add_u32 m0, 0x800, s48                                   // 0000000033D8: 807C30FF 00000800
	buffer_load_dword v60, s[20:23], 0 offen lds               // 0000000033E0: E0511000 8005003C
	s_add_u32 m0, 0x900, s48                                   // 0000000033E8: 807C30FF 00000900
	buffer_load_dword v61, s[20:23], 0 offen lds               // 0000000033F0: E0511000 8005003D
	s_add_u32 m0, 0xa00, s48                                   // 0000000033F8: 807C30FF 00000A00
	buffer_load_dword v62, s[20:23], 0 offen lds               // 000000003400: E0511000 8005003E
	s_add_u32 m0, 0xb00, s48                                   // 000000003408: 807C30FF 00000B00
	buffer_load_dword v63, s[20:23], 0 offen lds               // 000000003410: E0511000 8005003F
	s_add_u32 m0, 0, s49                                       // 000000003418: 807C3180
	s_add_u32 s20, s57, s20                                    // 00000000341C: 80141439
	s_addc_u32 s21, 0, s21                                     // 000000003420: 82151580
	buffer_load_dword v52, s[20:23], 0 offen lds               // 000000003424: E0511000 80050034
	s_add_u32 m0, 0x100, s49                                   // 00000000342C: 807C31FF 00000100
	buffer_load_dword v53, s[20:23], 0 offen lds               // 000000003434: E0511000 80050035
	s_add_u32 m0, 0x200, s49                                   // 00000000343C: 807C31FF 00000200
	buffer_load_dword v54, s[20:23], 0 offen lds               // 000000003444: E0511000 80050036
	s_add_u32 m0, 0x300, s49                                   // 00000000344C: 807C31FF 00000300
	buffer_load_dword v55, s[20:23], 0 offen lds               // 000000003454: E0511000 80050037
	s_add_u32 m0, 0x400, s49                                   // 00000000345C: 807C31FF 00000400
	buffer_load_dword v56, s[20:23], 0 offen lds               // 000000003464: E0511000 80050038
	s_add_u32 m0, 0x500, s49                                   // 00000000346C: 807C31FF 00000500
	buffer_load_dword v57, s[20:23], 0 offen lds               // 000000003474: E0511000 80050039
	s_add_u32 m0, 0x600, s49                                   // 00000000347C: 807C31FF 00000600
	buffer_load_dword v58, s[20:23], 0 offen lds               // 000000003484: E0511000 8005003A
	s_add_u32 m0, 0x700, s49                                   // 00000000348C: 807C31FF 00000700
	buffer_load_dword v59, s[20:23], 0 offen lds               // 000000003494: E0511000 8005003B
	s_add_u32 m0, 0x800, s49                                   // 00000000349C: 807C31FF 00000800
	buffer_load_dword v60, s[20:23], 0 offen lds               // 0000000034A4: E0511000 8005003C
	s_add_u32 m0, 0x900, s49                                   // 0000000034AC: 807C31FF 00000900
	buffer_load_dword v61, s[20:23], 0 offen lds               // 0000000034B4: E0511000 8005003D
	s_add_u32 m0, 0xa00, s49                                   // 0000000034BC: 807C31FF 00000A00
	buffer_load_dword v62, s[20:23], 0 offen lds               // 0000000034C4: E0511000 8005003E
	s_add_u32 m0, 0xb00, s49                                   // 0000000034CC: 807C31FF 00000B00
	buffer_load_dword v63, s[20:23], 0 offen lds               // 0000000034D4: E0511000 8005003F
	s_add_u32 m0, 0, s48                                       // 0000000034DC: 807C3080
	s_add_u32 s20, s57, s20                                    // 0000000034E0: 80141439
	s_addc_u32 s21, 0, s21                                     // 0000000034E4: 82151580
	buffer_load_dwordx4 a[96:99], v64, s[24:27], 0 offen       // 0000000034E8: E05C1000 80866040
	buffer_load_dwordx4 a[100:103], v64, s[24:27], 0 offen offset:1024// 0000000034F0: E05C1400 80866440
	s_add_u32 s24, s58, s24                                    // 0000000034F8: 8018183A
	s_addc_u32 s25, 0, s25                                     // 0000000034FC: 82191980
	s_waitcnt vmcnt(14)                                        // 000000003500: BF8C0F7E
	s_barrier                                                  // 000000003504: BF8A0000
	ds_read_b128 a[0:3], v2                                    // 000000003508: DBFE0000 00000002
	ds_read_b128 a[4:7], v2 offset:64                          // 000000003510: DBFE0040 04000002
	ds_read_b128 a[8:11], v2 offset:512                        // 000000003518: DBFE0200 08000002
	ds_read_b128 a[12:15], v2 offset:576                       // 000000003520: DBFE0240 0C000002
	ds_read_b128 a[16:19], v2 offset:1024                      // 000000003528: DBFE0400 10000002
	ds_read_b128 a[20:23], v2 offset:1088                      // 000000003530: DBFE0440 14000002
	ds_read_b128 a[24:27], v2 offset:1536                      // 000000003538: DBFE0600 18000002
	ds_read_b128 a[28:31], v2 offset:1600                      // 000000003540: DBFE0640 1C000002
	ds_read_b128 a[32:35], v2 offset:2048                      // 000000003548: DBFE0800 20000002
	ds_read_b128 a[36:39], v2 offset:2112                      // 000000003550: DBFE0840 24000002
	ds_read_b128 a[40:43], v2 offset:2560                      // 000000003558: DBFE0A00 28000002
	ds_read_b128 a[44:47], v2 offset:2624                      // 000000003560: DBFE0A40 2C000002
	s_cmp_lt_i32 s7, 2                                         // 000000003568: BF048207
	s_cbranch_scc0 label_0EB1                                  // 00000000356C: BF840BD2

0000000000003570 <label_02DC>:
	s_waitcnt vmcnt(0) lgkmcnt(0)                              // 000000003570: BF8C0070
	s_barrier                                                  // 000000003574: BF8A0000
	v_mfma_f32_16x16x32_fp8_fp8 v[68:71], a[96:97], a[0:1], v[68:71]// 000000003578: D3F30044 1D120160
	v_mfma_f32_16x16x32_fp8_fp8 v[68:71], a[98:99], a[2:3], v[68:71]// 000000003580: D3F30044 1D120562
	buffer_load_dwordx4 a[104:107], v64, s[84:87], 0 offen     // 000000003588: E05C1000 80956840
	v_mfma_f32_16x16x32_fp8_fp8 v[68:71], a[100:101], a[4:5], v[68:71]// 000000003590: D3F30044 1D120964
	v_mfma_f32_16x16x32_fp8_fp8 v[68:71], a[102:103], a[6:7], v[68:71]// 000000003598: D3F30044 1D120D66
	v_mfma_f32_16x16x32_fp8_fp8 v[72:75], a[96:97], a[8:9], v[72:75]// 0000000035A0: D3F30048 1D221160
	v_mfma_f32_16x16x32_fp8_fp8 v[72:75], a[98:99], a[10:11], v[72:75]// 0000000035A8: D3F30048 1D221562
	buffer_load_dwordx4 a[108:111], v64, s[84:87], 0 offen offset:1024// 0000000035B0: E05C1400 80956C40
	buffer_load_dword v52, s[20:23], 0 offen lds               // 0000000035B8: E0511000 80050034
	s_add_u32 m0, 0x100, s48                                   // 0000000035C0: 807C30FF 00000100
	v_mfma_f32_16x16x32_fp8_fp8 v[72:75], a[100:101], a[12:13], v[72:75]// 0000000035C8: D3F30048 1D221964
	v_mfma_f32_16x16x32_fp8_fp8 v[72:75], a[102:103], a[14:15], v[72:75]// 0000000035D0: D3F30048 1D221D66
	buffer_load_dword v53, s[20:23], 0 offen lds               // 0000000035D8: E0511000 80050035
	s_add_u32 m0, 0x200, s48                                   // 0000000035E0: 807C30FF 00000200
	v_mfma_f32_16x16x32_fp8_fp8 v[76:79], a[96:97], a[16:17], v[76:79]// 0000000035E8: D3F3004C 1D322160
	v_mfma_f32_16x16x32_fp8_fp8 v[76:79], a[98:99], a[18:19], v[76:79]// 0000000035F0: D3F3004C 1D322562
	buffer_load_dword v54, s[20:23], 0 offen lds               // 0000000035F8: E0511000 80050036
	s_add_u32 m0, 0x300, s48                                   // 000000003600: 807C30FF 00000300
	v_mfma_f32_16x16x32_fp8_fp8 v[76:79], a[100:101], a[20:21], v[76:79]// 000000003608: D3F3004C 1D322964
	v_mfma_f32_16x16x32_fp8_fp8 v[76:79], a[102:103], a[22:23], v[76:79]// 000000003610: D3F3004C 1D322D66
	buffer_load_dword v55, s[20:23], 0 offen lds               // 000000003618: E0511000 80050037
	s_add_u32 m0, 0x400, s48                                   // 000000003620: 807C30FF 00000400
	v_mfma_f32_16x16x32_fp8_fp8 v[80:83], a[96:97], a[24:25], v[80:83]// 000000003628: D3F30050 1D423160
	v_mfma_f32_16x16x32_fp8_fp8 v[80:83], a[98:99], a[26:27], v[80:83]// 000000003630: D3F30050 1D423562
	buffer_load_dword v56, s[20:23], 0 offen lds               // 000000003638: E0511000 80050038
	s_add_u32 m0, 0x500, s48                                   // 000000003640: 807C30FF 00000500
	v_mfma_f32_16x16x32_fp8_fp8 v[80:83], a[100:101], a[28:29], v[80:83]// 000000003648: D3F30050 1D423964
	v_mfma_f32_16x16x32_fp8_fp8 v[80:83], a[102:103], a[30:31], v[80:83]// 000000003650: D3F30050 1D423D66
	buffer_load_dword v57, s[20:23], 0 offen lds               // 000000003658: E0511000 80050039
	s_add_u32 m0, 0x600, s48                                   // 000000003660: 807C30FF 00000600
	v_mfma_f32_16x16x32_fp8_fp8 v[84:87], a[96:97], a[32:33], v[84:87]// 000000003668: D3F30054 1D524160
	v_mfma_f32_16x16x32_fp8_fp8 v[84:87], a[98:99], a[34:35], v[84:87]// 000000003670: D3F30054 1D524562
	buffer_load_dword v58, s[20:23], 0 offen lds               // 000000003678: E0511000 8005003A
	s_add_u32 m0, 0x700, s48                                   // 000000003680: 807C30FF 00000700
	v_mfma_f32_16x16x32_fp8_fp8 v[84:87], a[100:101], a[36:37], v[84:87]// 000000003688: D3F30054 1D524964
	v_mfma_f32_16x16x32_fp8_fp8 v[84:87], a[102:103], a[38:39], v[84:87]// 000000003690: D3F30054 1D524D66
	buffer_load_dword v59, s[20:23], 0 offen lds               // 000000003698: E0511000 8005003B
	s_add_u32 m0, 0x800, s48                                   // 0000000036A0: 807C30FF 00000800
	v_mfma_f32_16x16x32_fp8_fp8 v[88:91], a[96:97], a[40:41], v[88:91]// 0000000036A8: D3F30058 1D625160
	v_mfma_f32_16x16x32_fp8_fp8 v[88:91], a[98:99], a[42:43], v[88:91]// 0000000036B0: D3F30058 1D625562
	buffer_load_dword v60, s[20:23], 0 offen lds               // 0000000036B8: E0511000 8005003C
	s_add_u32 m0, 0x900, s48                                   // 0000000036C0: 807C30FF 00000900
	s_add_u32 s60, 0x80, s80                                   // 0000000036C8: 803C50FF 00000080
	s_cmp_lt_u32 s60, s81                                      // 0000000036D0: BF0A513C
	s_cselect_b32 s83, s83, 0                                  // 0000000036D4: 85538053
	v_mfma_f32_16x16x32_fp8_fp8 v[88:91], a[100:101], a[44:45], v[88:91]// 0000000036D8: D3F30058 1D625964
	v_mfma_f32_16x16x32_fp8_fp8 v[88:91], a[102:103], a[46:47], v[88:91]// 0000000036E0: D3F30058 1D625D66
	buffer_load_dword v61, s[20:23], 0 offen lds               // 0000000036E8: E0511000 8005003D
	s_add_u32 m0, 0xa00, s48                                   // 0000000036F0: 807C30FF 00000A00
	buffer_load_dword v62, s[20:23], 0 offen lds               // 0000000036F8: E0511000 8005003E
	s_add_u32 m0, 0xb00, s48                                   // 000000003700: 807C30FF 00000B00
	buffer_load_dword v63, s[20:23], 0 offen lds               // 000000003708: E0511000 8005003F
	s_add_u32 m0, 0, s49                                       // 000000003710: 807C3180
	s_waitcnt vmcnt(12)                                        // 000000003714: BF8C0F7C
	v_mfma_f32_16x16x32_fp8_fp8 v[92:95], a[104:105], a[0:1], v[92:95]// 000000003718: D3F3005C 1D720168
	v_mfma_f32_16x16x32_fp8_fp8 v[92:95], a[106:107], a[2:3], v[92:95]// 000000003720: D3F3005C 1D72056A
	buffer_load_dwordx4 a[96:99], v64, s[24:27], 0 offen       // 000000003728: E05C1000 80866040
	v_mfma_f32_16x16x32_fp8_fp8 v[92:95], a[108:109], a[4:5], v[92:95]// 000000003730: D3F3005C 1D72096C
	v_mfma_f32_16x16x32_fp8_fp8 v[92:95], a[110:111], a[6:7], v[92:95]// 000000003738: D3F3005C 1D720D6E
	ds_read_b128 a[48:51], v2 offset:12416                     // 000000003740: DBFE3080 30000002
	ds_read_b128 a[52:55], v2 offset:12480                     // 000000003748: DBFE30C0 34000002
	v_mfma_f32_16x16x32_fp8_fp8 v[96:99], a[104:105], a[8:9], v[96:99]// 000000003750: D3F30060 1D821168
	v_mfma_f32_16x16x32_fp8_fp8 v[96:99], a[106:107], a[10:11], v[96:99]// 000000003758: D3F30060 1D82156A
	buffer_load_dwordx4 a[100:103], v64, s[24:27], 0 offen offset:1024// 000000003760: E05C1400 80866440
	v_mfma_f32_16x16x32_fp8_fp8 v[96:99], a[108:109], a[12:13], v[96:99]// 000000003768: D3F30060 1D82196C
	v_mfma_f32_16x16x32_fp8_fp8 v[96:99], a[110:111], a[14:15], v[96:99]// 000000003770: D3F30060 1D821D6E
	ds_read_b128 a[56:59], v2 offset:12928                     // 000000003778: DBFE3280 38000002
	ds_read_b128 a[60:63], v2 offset:12992                     // 000000003780: DBFE32C0 3C000002
	v_mfma_f32_16x16x32_fp8_fp8 v[100:103], a[104:105], a[16:17], v[100:103]// 000000003788: D3F30064 1D922168
	v_mfma_f32_16x16x32_fp8_fp8 v[100:103], a[106:107], a[18:19], v[100:103]// 000000003790: D3F30064 1D92256A
	v_mfma_f32_16x16x32_fp8_fp8 v[100:103], a[108:109], a[20:21], v[100:103]// 000000003798: D3F30064 1D92296C
	v_mfma_f32_16x16x32_fp8_fp8 v[100:103], a[110:111], a[22:23], v[100:103]// 0000000037A0: D3F30064 1D922D6E
	ds_read_b128 a[64:67], v2 offset:13440                     // 0000000037A8: DBFE3480 40000002
	ds_read_b128 a[68:71], v2 offset:13504                     // 0000000037B0: DBFE34C0 44000002
	v_mfma_f32_16x16x32_fp8_fp8 v[104:107], a[104:105], a[24:25], v[104:107]// 0000000037B8: D3F30068 1DA23168
	v_mfma_f32_16x16x32_fp8_fp8 v[104:107], a[106:107], a[26:27], v[104:107]// 0000000037C0: D3F30068 1DA2356A
	v_mfma_f32_16x16x32_fp8_fp8 v[104:107], a[108:109], a[28:29], v[104:107]// 0000000037C8: D3F30068 1DA2396C
	v_mfma_f32_16x16x32_fp8_fp8 v[104:107], a[110:111], a[30:31], v[104:107]// 0000000037D0: D3F30068 1DA23D6E
	ds_read_b128 a[72:75], v2 offset:13952                     // 0000000037D8: DBFE3680 48000002
	ds_read_b128 a[76:79], v2 offset:14016                     // 0000000037E0: DBFE36C0 4C000002
	v_mfma_f32_16x16x32_fp8_fp8 v[108:111], a[104:105], a[32:33], v[108:111]// 0000000037E8: D3F3006C 1DB24168
	v_mfma_f32_16x16x32_fp8_fp8 v[108:111], a[106:107], a[34:35], v[108:111]// 0000000037F0: D3F3006C 1DB2456A
	v_mfma_f32_16x16x32_fp8_fp8 v[108:111], a[108:109], a[36:37], v[108:111]// 0000000037F8: D3F3006C 1DB2496C
	s_add_u32 s60, 0x180, s80                                  // 000000003800: 803C50FF 00000180
	s_cmp_lt_u32 s60, s81                                      // 000000003808: BF0A513C
	s_cselect_b32 s57, s57, 0                                  // 00000000380C: 85398039
	v_mfma_f32_16x16x32_fp8_fp8 v[108:111], a[110:111], a[38:39], v[108:111]// 000000003810: D3F3006C 1DB24D6E
	ds_read_b128 a[80:83], v2 offset:14464                     // 000000003818: DBFE3880 50000002
	ds_read_b128 a[84:87], v2 offset:14528                     // 000000003820: DBFE38C0 54000002
	s_add_u32 s60, 0x100, s80                                  // 000000003828: 803C50FF 00000100
	s_cmp_lt_u32 s60, s81                                      // 000000003830: BF0A513C
	s_cselect_b32 s58, s58, 0                                  // 000000003834: 853A803A
	v_mfma_f32_16x16x32_fp8_fp8 v[112:115], a[104:105], a[40:41], v[112:115]// 000000003838: D3F30070 1DC25168
	s_add_u32 s24, s58, s24                                    // 000000003840: 8018183A
	s_addc_u32 s25, 0, s25                                     // 000000003844: 82191980
	v_mfma_f32_16x16x32_fp8_fp8 v[112:115], a[106:107], a[42:43], v[112:115]// 000000003848: D3F30070 1DC2556A
	s_add_u32 s20, s57, s20                                    // 000000003850: 80141439
	s_addc_u32 s21, 0, s21                                     // 000000003854: 82151580
	v_mfma_f32_16x16x32_fp8_fp8 v[112:115], a[108:109], a[44:45], v[112:115]// 000000003858: D3F30070 1DC2596C
	s_add_u32 s84, s83, s84                                    // 000000003860: 80545453
	s_addc_u32 s85, 0, s85                                     // 000000003864: 82555580
	v_mfma_f32_16x16x32_fp8_fp8 v[112:115], a[110:111], a[46:47], v[112:115]// 000000003868: D3F30070 1DC25D6E
	ds_read_b128 a[88:91], v2 offset:14976                     // 000000003870: DBFE3A80 58000002
	ds_read_b128 a[92:95], v2 offset:15040                     // 000000003878: DBFE3AC0 5C000002
	s_addk_i32 s80, 0x80                                       // 000000003880: B7500080
	s_cmp_lt_i32 s80, s81                                      // 000000003884: BF045150
	s_cbranch_scc0 label_046B                                  // 000000003888: BF8400C8
	s_waitcnt vmcnt(0) lgkmcnt(0)                              // 00000000388C: BF8C0070
	s_barrier                                                  // 000000003890: BF8A0000
	v_mfma_f32_16x16x32_fp8_fp8 v[68:71], a[96:97], a[48:49], v[68:71]// 000000003894: D3F30044 1D126160
	v_mfma_f32_16x16x32_fp8_fp8 v[68:71], a[98:99], a[50:51], v[68:71]// 00000000389C: D3F30044 1D126562
	buffer_load_dwordx4 a[104:107], v64, s[84:87], 0 offen     // 0000000038A4: E05C1000 80956840
	v_mfma_f32_16x16x32_fp8_fp8 v[68:71], a[100:101], a[52:53], v[68:71]// 0000000038AC: D3F30044 1D126964
	v_mfma_f32_16x16x32_fp8_fp8 v[68:71], a[102:103], a[54:55], v[68:71]// 0000000038B4: D3F30044 1D126D66
	v_mfma_f32_16x16x32_fp8_fp8 v[72:75], a[96:97], a[56:57], v[72:75]// 0000000038BC: D3F30048 1D227160
	v_mfma_f32_16x16x32_fp8_fp8 v[72:75], a[98:99], a[58:59], v[72:75]// 0000000038C4: D3F30048 1D227562
	buffer_load_dwordx4 a[108:111], v64, s[84:87], 0 offen offset:1024// 0000000038CC: E05C1400 80956C40
	buffer_load_dword v52, s[20:23], 0 offen lds               // 0000000038D4: E0511000 80050034
	s_add_u32 m0, 0x100, s49                                   // 0000000038DC: 807C31FF 00000100
	v_mfma_f32_16x16x32_fp8_fp8 v[72:75], a[100:101], a[60:61], v[72:75]// 0000000038E4: D3F30048 1D227964
	v_mfma_f32_16x16x32_fp8_fp8 v[72:75], a[102:103], a[62:63], v[72:75]// 0000000038EC: D3F30048 1D227D66
	buffer_load_dword v53, s[20:23], 0 offen lds               // 0000000038F4: E0511000 80050035
	s_add_u32 m0, 0x200, s49                                   // 0000000038FC: 807C31FF 00000200
	v_mfma_f32_16x16x32_fp8_fp8 v[76:79], a[96:97], a[64:65], v[76:79]// 000000003904: D3F3004C 1D328160
	v_mfma_f32_16x16x32_fp8_fp8 v[76:79], a[98:99], a[66:67], v[76:79]// 00000000390C: D3F3004C 1D328562
	buffer_load_dword v54, s[20:23], 0 offen lds               // 000000003914: E0511000 80050036
	s_add_u32 m0, 0x300, s49                                   // 00000000391C: 807C31FF 00000300
	v_mfma_f32_16x16x32_fp8_fp8 v[76:79], a[100:101], a[68:69], v[76:79]// 000000003924: D3F3004C 1D328964
	v_mfma_f32_16x16x32_fp8_fp8 v[76:79], a[102:103], a[70:71], v[76:79]// 00000000392C: D3F3004C 1D328D66
	buffer_load_dword v55, s[20:23], 0 offen lds               // 000000003934: E0511000 80050037
	s_add_u32 m0, 0x400, s49                                   // 00000000393C: 807C31FF 00000400
	v_mfma_f32_16x16x32_fp8_fp8 v[80:83], a[96:97], a[72:73], v[80:83]// 000000003944: D3F30050 1D429160
	v_mfma_f32_16x16x32_fp8_fp8 v[80:83], a[98:99], a[74:75], v[80:83]// 00000000394C: D3F30050 1D429562
	buffer_load_dword v56, s[20:23], 0 offen lds               // 000000003954: E0511000 80050038
	s_add_u32 m0, 0x500, s49                                   // 00000000395C: 807C31FF 00000500
	v_mfma_f32_16x16x32_fp8_fp8 v[80:83], a[100:101], a[76:77], v[80:83]// 000000003964: D3F30050 1D429964
	v_mfma_f32_16x16x32_fp8_fp8 v[80:83], a[102:103], a[78:79], v[80:83]// 00000000396C: D3F30050 1D429D66
	buffer_load_dword v57, s[20:23], 0 offen lds               // 000000003974: E0511000 80050039
	s_add_u32 m0, 0x600, s49                                   // 00000000397C: 807C31FF 00000600
	v_mfma_f32_16x16x32_fp8_fp8 v[84:87], a[96:97], a[80:81], v[84:87]// 000000003984: D3F30054 1D52A160
	v_mfma_f32_16x16x32_fp8_fp8 v[84:87], a[98:99], a[82:83], v[84:87]// 00000000398C: D3F30054 1D52A562
	buffer_load_dword v58, s[20:23], 0 offen lds               // 000000003994: E0511000 8005003A
	s_add_u32 m0, 0x700, s49                                   // 00000000399C: 807C31FF 00000700
	v_mfma_f32_16x16x32_fp8_fp8 v[84:87], a[100:101], a[84:85], v[84:87]// 0000000039A4: D3F30054 1D52A964
	v_mfma_f32_16x16x32_fp8_fp8 v[84:87], a[102:103], a[86:87], v[84:87]// 0000000039AC: D3F30054 1D52AD66
	buffer_load_dword v59, s[20:23], 0 offen lds               // 0000000039B4: E0511000 8005003B
	s_add_u32 m0, 0x800, s49                                   // 0000000039BC: 807C31FF 00000800
	v_mfma_f32_16x16x32_fp8_fp8 v[88:91], a[96:97], a[88:89], v[88:91]// 0000000039C4: D3F30058 1D62B160
	v_mfma_f32_16x16x32_fp8_fp8 v[88:91], a[98:99], a[90:91], v[88:91]// 0000000039CC: D3F30058 1D62B562
	buffer_load_dword v60, s[20:23], 0 offen lds               // 0000000039D4: E0511000 8005003C
	s_add_u32 m0, 0x900, s49                                   // 0000000039DC: 807C31FF 00000900
	s_add_u32 s60, 0x80, s80                                   // 0000000039E4: 803C50FF 00000080
	s_cmp_lt_u32 s60, s81                                      // 0000000039EC: BF0A513C
	s_cselect_b32 s83, s83, 0                                  // 0000000039F0: 85538053
	v_mfma_f32_16x16x32_fp8_fp8 v[88:91], a[100:101], a[92:93], v[88:91]// 0000000039F4: D3F30058 1D62B964
	v_mfma_f32_16x16x32_fp8_fp8 v[88:91], a[102:103], a[94:95], v[88:91]// 0000000039FC: D3F30058 1D62BD66
	buffer_load_dword v61, s[20:23], 0 offen lds               // 000000003A04: E0511000 8005003D
	s_add_u32 m0, 0xa00, s49                                   // 000000003A0C: 807C31FF 00000A00
	buffer_load_dword v62, s[20:23], 0 offen lds               // 000000003A14: E0511000 8005003E
	s_add_u32 m0, 0xb00, s49                                   // 000000003A1C: 807C31FF 00000B00
	buffer_load_dword v63, s[20:23], 0 offen lds               // 000000003A24: E0511000 8005003F
	s_add_u32 m0, 0, s48                                       // 000000003A2C: 807C3080
	s_waitcnt vmcnt(12)                                        // 000000003A30: BF8C0F7C
	v_mfma_f32_16x16x32_fp8_fp8 v[92:95], a[104:105], a[48:49], v[92:95]// 000000003A34: D3F3005C 1D726168
	v_mfma_f32_16x16x32_fp8_fp8 v[92:95], a[106:107], a[50:51], v[92:95]// 000000003A3C: D3F3005C 1D72656A
	buffer_load_dwordx4 a[96:99], v64, s[24:27], 0 offen       // 000000003A44: E05C1000 80866040
	v_mfma_f32_16x16x32_fp8_fp8 v[92:95], a[108:109], a[52:53], v[92:95]// 000000003A4C: D3F3005C 1D72696C
	v_mfma_f32_16x16x32_fp8_fp8 v[92:95], a[110:111], a[54:55], v[92:95]// 000000003A54: D3F3005C 1D726D6E
	ds_read_b128 a[0:3], v2                                    // 000000003A5C: DBFE0000 00000002
	ds_read_b128 a[4:7], v2 offset:64                          // 000000003A64: DBFE0040 04000002
	v_mfma_f32_16x16x32_fp8_fp8 v[96:99], a[104:105], a[56:57], v[96:99]// 000000003A6C: D3F30060 1D827168
	v_mfma_f32_16x16x32_fp8_fp8 v[96:99], a[106:107], a[58:59], v[96:99]// 000000003A74: D3F30060 1D82756A
	buffer_load_dwordx4 a[100:103], v64, s[24:27], 0 offen offset:1024// 000000003A7C: E05C1400 80866440
	v_mfma_f32_16x16x32_fp8_fp8 v[96:99], a[108:109], a[60:61], v[96:99]// 000000003A84: D3F30060 1D82796C
	v_mfma_f32_16x16x32_fp8_fp8 v[96:99], a[110:111], a[62:63], v[96:99]// 000000003A8C: D3F30060 1D827D6E
	ds_read_b128 a[8:11], v2 offset:512                        // 000000003A94: DBFE0200 08000002
	ds_read_b128 a[12:15], v2 offset:576                       // 000000003A9C: DBFE0240 0C000002
	v_mfma_f32_16x16x32_fp8_fp8 v[100:103], a[104:105], a[64:65], v[100:103]// 000000003AA4: D3F30064 1D928168
	v_mfma_f32_16x16x32_fp8_fp8 v[100:103], a[106:107], a[66:67], v[100:103]// 000000003AAC: D3F30064 1D92856A
	v_mfma_f32_16x16x32_fp8_fp8 v[100:103], a[108:109], a[68:69], v[100:103]// 000000003AB4: D3F30064 1D92896C
	v_mfma_f32_16x16x32_fp8_fp8 v[100:103], a[110:111], a[70:71], v[100:103]// 000000003ABC: D3F30064 1D928D6E
	ds_read_b128 a[16:19], v2 offset:1024                      // 000000003AC4: DBFE0400 10000002
	ds_read_b128 a[20:23], v2 offset:1088                      // 000000003ACC: DBFE0440 14000002
	v_mfma_f32_16x16x32_fp8_fp8 v[104:107], a[104:105], a[72:73], v[104:107]// 000000003AD4: D3F30068 1DA29168
	v_mfma_f32_16x16x32_fp8_fp8 v[104:107], a[106:107], a[74:75], v[104:107]// 000000003ADC: D3F30068 1DA2956A
	v_mfma_f32_16x16x32_fp8_fp8 v[104:107], a[108:109], a[76:77], v[104:107]// 000000003AE4: D3F30068 1DA2996C
	v_mfma_f32_16x16x32_fp8_fp8 v[104:107], a[110:111], a[78:79], v[104:107]// 000000003AEC: D3F30068 1DA29D6E
	ds_read_b128 a[24:27], v2 offset:1536                      // 000000003AF4: DBFE0600 18000002
	ds_read_b128 a[28:31], v2 offset:1600                      // 000000003AFC: DBFE0640 1C000002
	v_mfma_f32_16x16x32_fp8_fp8 v[108:111], a[104:105], a[80:81], v[108:111]// 000000003B04: D3F3006C 1DB2A168
	v_mfma_f32_16x16x32_fp8_fp8 v[108:111], a[106:107], a[82:83], v[108:111]// 000000003B0C: D3F3006C 1DB2A56A
	v_mfma_f32_16x16x32_fp8_fp8 v[108:111], a[108:109], a[84:85], v[108:111]// 000000003B14: D3F3006C 1DB2A96C
	s_add_u32 s60, 0x180, s80                                  // 000000003B1C: 803C50FF 00000180
	s_cmp_lt_u32 s60, s81                                      // 000000003B24: BF0A513C
	s_cselect_b32 s57, s57, 0                                  // 000000003B28: 85398039
	v_mfma_f32_16x16x32_fp8_fp8 v[108:111], a[110:111], a[86:87], v[108:111]// 000000003B2C: D3F3006C 1DB2AD6E
	ds_read_b128 a[32:35], v2 offset:2048                      // 000000003B34: DBFE0800 20000002
	ds_read_b128 a[36:39], v2 offset:2112                      // 000000003B3C: DBFE0840 24000002
	s_add_u32 s60, 0x100, s80                                  // 000000003B44: 803C50FF 00000100
	s_cmp_lt_u32 s60, s81                                      // 000000003B4C: BF0A513C
	s_cselect_b32 s58, s58, 0                                  // 000000003B50: 853A803A
	v_mfma_f32_16x16x32_fp8_fp8 v[112:115], a[104:105], a[88:89], v[112:115]// 000000003B54: D3F30070 1DC2B168
	s_add_u32 s24, s58, s24                                    // 000000003B5C: 8018183A
	s_addc_u32 s25, 0, s25                                     // 000000003B60: 82191980
	v_mfma_f32_16x16x32_fp8_fp8 v[112:115], a[106:107], a[90:91], v[112:115]// 000000003B64: D3F30070 1DC2B56A
	s_add_u32 s20, s57, s20                                    // 000000003B6C: 80141439
	s_addc_u32 s21, 0, s21                                     // 000000003B70: 82151580
	v_mfma_f32_16x16x32_fp8_fp8 v[112:115], a[108:109], a[92:93], v[112:115]// 000000003B74: D3F30070 1DC2B96C
	s_add_u32 s84, s83, s84                                    // 000000003B7C: 80545453
	s_addc_u32 s85, 0, s85                                     // 000000003B80: 82555580
	v_mfma_f32_16x16x32_fp8_fp8 v[112:115], a[110:111], a[94:95], v[112:115]// 000000003B84: D3F30070 1DC2BD6E
	ds_read_b128 a[40:43], v2 offset:2560                      // 000000003B8C: DBFE0A00 28000002
	ds_read_b128 a[44:47], v2 offset:2624                      // 000000003B94: DBFE0A40 2C000002
	s_addk_i32 s80, 0x80                                       // 000000003B9C: B7500080
	s_cmp_lt_i32 s80, s81                                      // 000000003BA0: BF045150
	s_cbranch_scc0 label_046B                                  // 000000003BA4: BF840001
	s_branch label_02DC                                        // 000000003BA8: BF82FE71

0000000000003bac <label_046B>:
	v_mul_f32_dpp v68, v24, v68 row_newbcast:0 row_mask:0xf bank_mask:0xf// 000000003BAC: 0A8888FA FF015018
	v_mul_f32_dpp v69, v24, v69 row_newbcast:1 row_mask:0xf bank_mask:0xf// 000000003BB4: 0A8A8AFA FF015118
	v_mul_f32_dpp v70, v24, v70 row_newbcast:2 row_mask:0xf bank_mask:0xf// 000000003BBC: 0A8C8CFA FF015218
	v_mul_f32_dpp v71, v24, v71 row_newbcast:3 row_mask:0xf bank_mask:0xf// 000000003BC4: 0A8E8EFA FF015318
	v_mul_f32_dpp v72, v24, v72 row_newbcast:0 row_mask:0xf bank_mask:0xf// 000000003BCC: 0A9090FA FF015018
	v_mul_f32_dpp v73, v24, v73 row_newbcast:1 row_mask:0xf bank_mask:0xf// 000000003BD4: 0A9292FA FF015118
	v_mul_f32_dpp v74, v24, v74 row_newbcast:2 row_mask:0xf bank_mask:0xf// 000000003BDC: 0A9494FA FF015218
	v_mul_f32_dpp v75, v24, v75 row_newbcast:3 row_mask:0xf bank_mask:0xf// 000000003BE4: 0A9696FA FF015318
	v_mul_f32_dpp v76, v24, v76 row_newbcast:0 row_mask:0xf bank_mask:0xf// 000000003BEC: 0A9898FA FF015018
	v_mul_f32_dpp v77, v24, v77 row_newbcast:1 row_mask:0xf bank_mask:0xf// 000000003BF4: 0A9A9AFA FF015118
	v_mul_f32_dpp v78, v24, v78 row_newbcast:2 row_mask:0xf bank_mask:0xf// 000000003BFC: 0A9C9CFA FF015218
	v_mul_f32_dpp v79, v24, v79 row_newbcast:3 row_mask:0xf bank_mask:0xf// 000000003C04: 0A9E9EFA FF015318
	v_mul_f32_dpp v80, v24, v80 row_newbcast:0 row_mask:0xf bank_mask:0xf// 000000003C0C: 0AA0A0FA FF015018
	v_mul_f32_dpp v81, v24, v81 row_newbcast:1 row_mask:0xf bank_mask:0xf// 000000003C14: 0AA2A2FA FF015118
	v_mul_f32_dpp v82, v24, v82 row_newbcast:2 row_mask:0xf bank_mask:0xf// 000000003C1C: 0AA4A4FA FF015218
	v_mul_f32_dpp v83, v24, v83 row_newbcast:3 row_mask:0xf bank_mask:0xf// 000000003C24: 0AA6A6FA FF015318
	v_mul_f32_dpp v84, v24, v84 row_newbcast:0 row_mask:0xf bank_mask:0xf// 000000003C2C: 0AA8A8FA FF015018
	v_mul_f32_dpp v85, v24, v85 row_newbcast:1 row_mask:0xf bank_mask:0xf// 000000003C34: 0AAAAAFA FF015118
	v_mul_f32_dpp v86, v24, v86 row_newbcast:2 row_mask:0xf bank_mask:0xf// 000000003C3C: 0AACACFA FF015218
	v_mul_f32_dpp v87, v24, v87 row_newbcast:3 row_mask:0xf bank_mask:0xf// 000000003C44: 0AAEAEFA FF015318
	v_mul_f32_dpp v88, v24, v88 row_newbcast:0 row_mask:0xf bank_mask:0xf// 000000003C4C: 0AB0B0FA FF015018
	v_mul_f32_dpp v89, v24, v89 row_newbcast:1 row_mask:0xf bank_mask:0xf// 000000003C54: 0AB2B2FA FF015118
	v_mul_f32_dpp v90, v24, v90 row_newbcast:2 row_mask:0xf bank_mask:0xf// 000000003C5C: 0AB4B4FA FF015218
	v_mul_f32_dpp v91, v24, v91 row_newbcast:3 row_mask:0xf bank_mask:0xf// 000000003C64: 0AB6B6FA FF015318
	v_mul_f32_dpp v92, v26, v92 row_newbcast:0 row_mask:0xf bank_mask:0xf// 000000003C6C: 0AB8B8FA FF01501A
	v_mul_f32_dpp v93, v26, v93 row_newbcast:1 row_mask:0xf bank_mask:0xf// 000000003C74: 0ABABAFA FF01511A
	v_mul_f32_dpp v94, v26, v94 row_newbcast:2 row_mask:0xf bank_mask:0xf// 000000003C7C: 0ABCBCFA FF01521A
	v_mul_f32_dpp v95, v26, v95 row_newbcast:3 row_mask:0xf bank_mask:0xf// 000000003C84: 0ABEBEFA FF01531A
	v_mul_f32_dpp v96, v26, v96 row_newbcast:0 row_mask:0xf bank_mask:0xf// 000000003C8C: 0AC0C0FA FF01501A
	v_mul_f32_dpp v97, v26, v97 row_newbcast:1 row_mask:0xf bank_mask:0xf// 000000003C94: 0AC2C2FA FF01511A
	v_mul_f32_dpp v98, v26, v98 row_newbcast:2 row_mask:0xf bank_mask:0xf// 000000003C9C: 0AC4C4FA FF01521A
	v_mul_f32_dpp v99, v26, v99 row_newbcast:3 row_mask:0xf bank_mask:0xf// 000000003CA4: 0AC6C6FA FF01531A
	v_mul_f32_dpp v100, v26, v100 row_newbcast:0 row_mask:0xf bank_mask:0xf// 000000003CAC: 0AC8C8FA FF01501A
	v_mul_f32_dpp v101, v26, v101 row_newbcast:1 row_mask:0xf bank_mask:0xf// 000000003CB4: 0ACACAFA FF01511A
	v_mul_f32_dpp v102, v26, v102 row_newbcast:2 row_mask:0xf bank_mask:0xf// 000000003CBC: 0ACCCCFA FF01521A
	v_mul_f32_dpp v103, v26, v103 row_newbcast:3 row_mask:0xf bank_mask:0xf// 000000003CC4: 0ACECEFA FF01531A
	v_mul_f32_dpp v104, v26, v104 row_newbcast:0 row_mask:0xf bank_mask:0xf// 000000003CCC: 0AD0D0FA FF01501A
	v_mul_f32_dpp v105, v26, v105 row_newbcast:1 row_mask:0xf bank_mask:0xf// 000000003CD4: 0AD2D2FA FF01511A
	v_mul_f32_dpp v106, v26, v106 row_newbcast:2 row_mask:0xf bank_mask:0xf// 000000003CDC: 0AD4D4FA FF01521A
	v_mul_f32_dpp v107, v26, v107 row_newbcast:3 row_mask:0xf bank_mask:0xf// 000000003CE4: 0AD6D6FA FF01531A
	v_mul_f32_dpp v108, v26, v108 row_newbcast:0 row_mask:0xf bank_mask:0xf// 000000003CEC: 0AD8D8FA FF01501A
	v_mul_f32_dpp v109, v26, v109 row_newbcast:1 row_mask:0xf bank_mask:0xf// 000000003CF4: 0ADADAFA FF01511A
	v_mul_f32_dpp v110, v26, v110 row_newbcast:2 row_mask:0xf bank_mask:0xf// 000000003CFC: 0ADCDCFA FF01521A
	v_mul_f32_dpp v111, v26, v111 row_newbcast:3 row_mask:0xf bank_mask:0xf// 000000003D04: 0ADEDEFA FF01531A
	v_mul_f32_dpp v112, v26, v112 row_newbcast:0 row_mask:0xf bank_mask:0xf// 000000003D0C: 0AE0E0FA FF01501A
	v_mul_f32_dpp v113, v26, v113 row_newbcast:1 row_mask:0xf bank_mask:0xf// 000000003D14: 0AE2E2FA FF01511A
	v_mul_f32_dpp v114, v26, v114 row_newbcast:2 row_mask:0xf bank_mask:0xf// 000000003D1C: 0AE4E4FA FF01521A
	v_mul_f32_dpp v115, v26, v115 row_newbcast:3 row_mask:0xf bank_mask:0xf// 000000003D24: 0AE6E6FA FF01531A
	v_mul_f32_e32 v34, v34, v116                               // 000000003D2C: 0A44E922
	v_mov_b32_e32 v4, v34                                      // 000000003D30: 7E080322
	v_mov_b32_e32 v5, v4                                       // 000000003D34: 7E0A0304
	v_pk_mul_f32 v[68:69], v[4:5], v[68:69]                    // 000000003D38: D3B14044 18028904
	v_pk_mul_f32 v[92:93], v[4:5], v[92:93]                    // 000000003D40: D3B1405C 1802B904
	v_pk_mul_f32 v[70:71], v[4:5], v[70:71]                    // 000000003D48: D3B14046 18028D04
	v_pk_mul_f32 v[94:95], v[4:5], v[94:95]                    // 000000003D50: D3B1405E 1802BD04
	v_mul_f32_e32 v35, v35, v117                               // 000000003D58: 0A46EB23
	v_mov_b32_e32 v4, v35                                      // 000000003D5C: 7E080323
	v_mov_b32_e32 v5, v4                                       // 000000003D60: 7E0A0304
	v_pk_mul_f32 v[72:73], v[4:5], v[72:73]                    // 000000003D64: D3B14048 18029104
	v_pk_mul_f32 v[96:97], v[4:5], v[96:97]                    // 000000003D6C: D3B14060 1802C104
	v_pk_mul_f32 v[74:75], v[4:5], v[74:75]                    // 000000003D74: D3B1404A 18029504
	v_pk_mul_f32 v[98:99], v[4:5], v[98:99]                    // 000000003D7C: D3B14062 1802C504
	v_mul_f32_e32 v36, v36, v118                               // 000000003D84: 0A48ED24
	v_mov_b32_e32 v4, v36                                      // 000000003D88: 7E080324
	v_mov_b32_e32 v5, v4                                       // 000000003D8C: 7E0A0304
	v_pk_mul_f32 v[76:77], v[4:5], v[76:77]                    // 000000003D90: D3B1404C 18029904
	v_pk_mul_f32 v[100:101], v[4:5], v[100:101]                // 000000003D98: D3B14064 1802C904
	v_pk_mul_f32 v[78:79], v[4:5], v[78:79]                    // 000000003DA0: D3B1404E 18029D04
	v_pk_mul_f32 v[102:103], v[4:5], v[102:103]                // 000000003DA8: D3B14066 1802CD04
	v_mul_f32_e32 v37, v37, v119                               // 000000003DB0: 0A4AEF25
	v_mov_b32_e32 v4, v37                                      // 000000003DB4: 7E080325
	v_mov_b32_e32 v5, v4                                       // 000000003DB8: 7E0A0304
	v_pk_mul_f32 v[80:81], v[4:5], v[80:81]                    // 000000003DBC: D3B14050 1802A104
	v_pk_mul_f32 v[104:105], v[4:5], v[104:105]                // 000000003DC4: D3B14068 1802D104
	v_pk_mul_f32 v[82:83], v[4:5], v[82:83]                    // 000000003DCC: D3B14052 1802A504
	v_pk_mul_f32 v[106:107], v[4:5], v[106:107]                // 000000003DD4: D3B1406A 1802D504
	v_mul_f32_e32 v38, v38, v120                               // 000000003DDC: 0A4CF126
	v_mov_b32_e32 v4, v38                                      // 000000003DE0: 7E080326
	v_mov_b32_e32 v5, v4                                       // 000000003DE4: 7E0A0304
	v_pk_mul_f32 v[84:85], v[4:5], v[84:85]                    // 000000003DE8: D3B14054 1802A904
	v_pk_mul_f32 v[108:109], v[4:5], v[108:109]                // 000000003DF0: D3B1406C 1802D904
	v_pk_mul_f32 v[86:87], v[4:5], v[86:87]                    // 000000003DF8: D3B14056 1802AD04
	v_pk_mul_f32 v[110:111], v[4:5], v[110:111]                // 000000003E00: D3B1406E 1802DD04
	v_mul_f32_e32 v39, v39, v121                               // 000000003E08: 0A4EF327
	v_mov_b32_e32 v4, v39                                      // 000000003E0C: 7E080327
	v_mov_b32_e32 v5, v4                                       // 000000003E10: 7E0A0304
	v_pk_mul_f32 v[88:89], v[4:5], v[88:89]                    // 000000003E14: D3B14058 1802B104
	v_pk_mul_f32 v[112:113], v[4:5], v[112:113]                // 000000003E1C: D3B14070 1802E104
	v_pk_mul_f32 v[90:91], v[4:5], v[90:91]                    // 000000003E24: D3B1405A 1802B504
	v_pk_mul_f32 v[114:115], v[4:5], v[114:115]                // 000000003E2C: D3B14072 1802E504
	s_cmp_eq_u32 s88, 0                                        // 000000003E34: BF068058
	s_cbranch_scc0 label_098C                                  // 000000003E38: BF84047D
	s_cmp_eq_u32 s89, 0                                        // 000000003E3C: BF068059
	s_cbranch_scc1 label_0606                                  // 000000003E40: BF8500F5
	v_mov_b32_e32 v8, v1                                       // 000000003E44: 7E100301
	v_mov_b32_e32 v9, v1                                       // 000000003E48: 7E120301
	s_mov_b32 s60, s6                                          // 000000003E4C: BEBC0006
	s_mov_b32 s61, s6                                          // 000000003E50: BEBD0006
	v_pk_mul_f32 v[4:5], v[68:69], v[68:69]                    // 000000003E54: D3B14004 18028944
	v_pk_mul_f32 v[6:7], v[70:71], v[70:71]                    // 000000003E5C: D3B14006 18028D46
	v_pk_fma_f32 v[4:5], v[4:5], s[78:79], v[8:9]              // 000000003E64: D3B04004 1C209D04
	v_pk_fma_f32 v[6:7], v[6:7], s[78:79], v[8:9]              // 000000003E6C: D3B04006 1C209D06
	v_pk_mul_f32 v[4:5], v[4:5], v[68:69]                      // 000000003E74: D3B14004 18028904
	v_pk_mul_f32 v[6:7], v[6:7], v[70:71]                      // 000000003E7C: D3B14006 18028D06
	v_pk_mul_f32 v[4:5], v[4:5], s[60:61]                      // 000000003E84: D3B14004 18007904
	v_pk_mul_f32 v[6:7], v[6:7], s[60:61]                      // 000000003E8C: D3B14006 18007906
	v_exp_f32_e32 v4, v4                                       // 000000003E94: 7E084104
	v_exp_f32_e32 v5, v5                                       // 000000003E98: 7E0A4105
	v_exp_f32_e32 v6, v6                                       // 000000003E9C: 7E0C4106
	v_exp_f32_e32 v7, v7                                       // 000000003EA0: 7E0E4107
	v_add_f32_e64 v4, v4, 1.0                                  // 000000003EA4: D1010004 0001E504
	v_add_f32_e64 v5, v5, 1.0                                  // 000000003EAC: D1010005 0001E505
	v_add_f32_e64 v6, v6, 1.0                                  // 000000003EB4: D1010006 0001E506
	v_add_f32_e64 v7, v7, 1.0                                  // 000000003EBC: D1010007 0001E507
	v_rcp_f32_e32 v4, v4                                       // 000000003EC4: 7E084504
	v_rcp_f32_e32 v5, v5                                       // 000000003EC8: 7E0A4505
	v_rcp_f32_e32 v6, v6                                       // 000000003ECC: 7E0C4506
	v_rcp_f32_e32 v7, v7                                       // 000000003ED0: 7E0E4507
	v_mul_f32_e32 v68, v68, v4                                 // 000000003ED4: 0A880944
	v_mul_f32_e32 v69, v69, v5                                 // 000000003ED8: 0A8A0B45
	v_mul_f32_e32 v70, v70, v6                                 // 000000003EDC: 0A8C0D46
	v_mul_f32_e32 v71, v71, v7                                 // 000000003EE0: 0A8E0F47
	v_mul_f32_e32 v68, v68, v92                                // 000000003EE4: 0A88B944
	v_mul_f32_e32 v69, v69, v93                                // 000000003EE8: 0A8ABB45
	v_mul_f32_e32 v70, v70, v94                                // 000000003EEC: 0A8CBD46
	v_mul_f32_e32 v71, v71, v95                                // 000000003EF0: 0A8EBF47
	v_pk_mul_f32 v[4:5], v[72:73], v[72:73]                    // 000000003EF4: D3B14004 18029148
	v_pk_mul_f32 v[6:7], v[74:75], v[74:75]                    // 000000003EFC: D3B14006 1802954A
	v_pk_fma_f32 v[4:5], v[4:5], s[78:79], v[8:9]              // 000000003F04: D3B04004 1C209D04
	v_pk_fma_f32 v[6:7], v[6:7], s[78:79], v[8:9]              // 000000003F0C: D3B04006 1C209D06
	v_pk_mul_f32 v[4:5], v[4:5], v[72:73]                      // 000000003F14: D3B14004 18029104
	v_pk_mul_f32 v[6:7], v[6:7], v[74:75]                      // 000000003F1C: D3B14006 18029506
	v_pk_mul_f32 v[4:5], v[4:5], s[60:61]                      // 000000003F24: D3B14004 18007904
	v_pk_mul_f32 v[6:7], v[6:7], s[60:61]                      // 000000003F2C: D3B14006 18007906
	v_exp_f32_e32 v4, v4                                       // 000000003F34: 7E084104
	v_exp_f32_e32 v5, v5                                       // 000000003F38: 7E0A4105
	v_exp_f32_e32 v6, v6                                       // 000000003F3C: 7E0C4106
	v_exp_f32_e32 v7, v7                                       // 000000003F40: 7E0E4107
	v_add_f32_e64 v4, v4, 1.0                                  // 000000003F44: D1010004 0001E504
	v_add_f32_e64 v5, v5, 1.0                                  // 000000003F4C: D1010005 0001E505
	v_add_f32_e64 v6, v6, 1.0                                  // 000000003F54: D1010006 0001E506
	v_add_f32_e64 v7, v7, 1.0                                  // 000000003F5C: D1010007 0001E507
	v_rcp_f32_e32 v4, v4                                       // 000000003F64: 7E084504
	v_rcp_f32_e32 v5, v5                                       // 000000003F68: 7E0A4505
	v_rcp_f32_e32 v6, v6                                       // 000000003F6C: 7E0C4506
	v_rcp_f32_e32 v7, v7                                       // 000000003F70: 7E0E4507
	v_mul_f32_e32 v72, v72, v4                                 // 000000003F74: 0A900948
	v_mul_f32_e32 v73, v73, v5                                 // 000000003F78: 0A920B49
	v_mul_f32_e32 v74, v74, v6                                 // 000000003F7C: 0A940D4A
	v_mul_f32_e32 v75, v75, v7                                 // 000000003F80: 0A960F4B
	v_mul_f32_e32 v72, v72, v96                                // 000000003F84: 0A90C148
	v_mul_f32_e32 v73, v73, v97                                // 000000003F88: 0A92C349
	v_mul_f32_e32 v74, v74, v98                                // 000000003F8C: 0A94C54A
	v_mul_f32_e32 v75, v75, v99                                // 000000003F90: 0A96C74B
	v_pk_mul_f32 v[4:5], v[76:77], v[76:77]                    // 000000003F94: D3B14004 1802994C
	v_pk_mul_f32 v[6:7], v[78:79], v[78:79]                    // 000000003F9C: D3B14006 18029D4E
	v_pk_fma_f32 v[4:5], v[4:5], s[78:79], v[8:9]              // 000000003FA4: D3B04004 1C209D04
	v_pk_fma_f32 v[6:7], v[6:7], s[78:79], v[8:9]              // 000000003FAC: D3B04006 1C209D06
	v_pk_mul_f32 v[4:5], v[4:5], v[76:77]                      // 000000003FB4: D3B14004 18029904
	v_pk_mul_f32 v[6:7], v[6:7], v[78:79]                      // 000000003FBC: D3B14006 18029D06
	v_pk_mul_f32 v[4:5], v[4:5], s[60:61]                      // 000000003FC4: D3B14004 18007904
	v_pk_mul_f32 v[6:7], v[6:7], s[60:61]                      // 000000003FCC: D3B14006 18007906
	v_exp_f32_e32 v4, v4                                       // 000000003FD4: 7E084104
	v_exp_f32_e32 v5, v5                                       // 000000003FD8: 7E0A4105
	v_exp_f32_e32 v6, v6                                       // 000000003FDC: 7E0C4106
	v_exp_f32_e32 v7, v7                                       // 000000003FE0: 7E0E4107
	v_add_f32_e64 v4, v4, 1.0                                  // 000000003FE4: D1010004 0001E504
	v_add_f32_e64 v5, v5, 1.0                                  // 000000003FEC: D1010005 0001E505
	v_add_f32_e64 v6, v6, 1.0                                  // 000000003FF4: D1010006 0001E506
	v_add_f32_e64 v7, v7, 1.0                                  // 000000003FFC: D1010007 0001E507
	v_rcp_f32_e32 v4, v4                                       // 000000004004: 7E084504
	v_rcp_f32_e32 v5, v5                                       // 000000004008: 7E0A4505
	v_rcp_f32_e32 v6, v6                                       // 00000000400C: 7E0C4506
	v_rcp_f32_e32 v7, v7                                       // 000000004010: 7E0E4507
	v_mul_f32_e32 v76, v76, v4                                 // 000000004014: 0A98094C
	v_mul_f32_e32 v77, v77, v5                                 // 000000004018: 0A9A0B4D
	v_mul_f32_e32 v78, v78, v6                                 // 00000000401C: 0A9C0D4E
	v_mul_f32_e32 v79, v79, v7                                 // 000000004020: 0A9E0F4F
	v_mul_f32_e32 v76, v76, v100                               // 000000004024: 0A98C94C
	v_mul_f32_e32 v77, v77, v101                               // 000000004028: 0A9ACB4D
	v_mul_f32_e32 v78, v78, v102                               // 00000000402C: 0A9CCD4E
	v_mul_f32_e32 v79, v79, v103                               // 000000004030: 0A9ECF4F
	v_pk_mul_f32 v[4:5], v[80:81], v[80:81]                    // 000000004034: D3B14004 1802A150
	v_pk_mul_f32 v[6:7], v[82:83], v[82:83]                    // 00000000403C: D3B14006 1802A552
	v_pk_fma_f32 v[4:5], v[4:5], s[78:79], v[8:9]              // 000000004044: D3B04004 1C209D04
	v_pk_fma_f32 v[6:7], v[6:7], s[78:79], v[8:9]              // 00000000404C: D3B04006 1C209D06
	v_pk_mul_f32 v[4:5], v[4:5], v[80:81]                      // 000000004054: D3B14004 1802A104
	v_pk_mul_f32 v[6:7], v[6:7], v[82:83]                      // 00000000405C: D3B14006 1802A506
	v_pk_mul_f32 v[4:5], v[4:5], s[60:61]                      // 000000004064: D3B14004 18007904
	v_pk_mul_f32 v[6:7], v[6:7], s[60:61]                      // 00000000406C: D3B14006 18007906
	v_exp_f32_e32 v4, v4                                       // 000000004074: 7E084104
	v_exp_f32_e32 v5, v5                                       // 000000004078: 7E0A4105
	v_exp_f32_e32 v6, v6                                       // 00000000407C: 7E0C4106
	v_exp_f32_e32 v7, v7                                       // 000000004080: 7E0E4107
	v_add_f32_e64 v4, v4, 1.0                                  // 000000004084: D1010004 0001E504
	v_add_f32_e64 v5, v5, 1.0                                  // 00000000408C: D1010005 0001E505
	v_add_f32_e64 v6, v6, 1.0                                  // 000000004094: D1010006 0001E506
	v_add_f32_e64 v7, v7, 1.0                                  // 00000000409C: D1010007 0001E507
	v_rcp_f32_e32 v4, v4                                       // 0000000040A4: 7E084504
	v_rcp_f32_e32 v5, v5                                       // 0000000040A8: 7E0A4505
	v_rcp_f32_e32 v6, v6                                       // 0000000040AC: 7E0C4506
	v_rcp_f32_e32 v7, v7                                       // 0000000040B0: 7E0E4507
	v_mul_f32_e32 v80, v80, v4                                 // 0000000040B4: 0AA00950
	v_mul_f32_e32 v81, v81, v5                                 // 0000000040B8: 0AA20B51
	v_mul_f32_e32 v82, v82, v6                                 // 0000000040BC: 0AA40D52
	v_mul_f32_e32 v83, v83, v7                                 // 0000000040C0: 0AA60F53
	v_mul_f32_e32 v80, v80, v104                               // 0000000040C4: 0AA0D150
	v_mul_f32_e32 v81, v81, v105                               // 0000000040C8: 0AA2D351
	v_mul_f32_e32 v82, v82, v106                               // 0000000040CC: 0AA4D552
	v_mul_f32_e32 v83, v83, v107                               // 0000000040D0: 0AA6D753
	v_pk_mul_f32 v[4:5], v[84:85], v[84:85]                    // 0000000040D4: D3B14004 1802A954
	v_pk_mul_f32 v[6:7], v[86:87], v[86:87]                    // 0000000040DC: D3B14006 1802AD56
	v_pk_fma_f32 v[4:5], v[4:5], s[78:79], v[8:9]              // 0000000040E4: D3B04004 1C209D04
	v_pk_fma_f32 v[6:7], v[6:7], s[78:79], v[8:9]              // 0000000040EC: D3B04006 1C209D06
	v_pk_mul_f32 v[4:5], v[4:5], v[84:85]                      // 0000000040F4: D3B14004 1802A904
	v_pk_mul_f32 v[6:7], v[6:7], v[86:87]                      // 0000000040FC: D3B14006 1802AD06
	v_pk_mul_f32 v[4:5], v[4:5], s[60:61]                      // 000000004104: D3B14004 18007904
	v_pk_mul_f32 v[6:7], v[6:7], s[60:61]                      // 00000000410C: D3B14006 18007906
	v_exp_f32_e32 v4, v4                                       // 000000004114: 7E084104
	v_exp_f32_e32 v5, v5                                       // 000000004118: 7E0A4105
	v_exp_f32_e32 v6, v6                                       // 00000000411C: 7E0C4106
	v_exp_f32_e32 v7, v7                                       // 000000004120: 7E0E4107
	v_add_f32_e64 v4, v4, 1.0                                  // 000000004124: D1010004 0001E504
	v_add_f32_e64 v5, v5, 1.0                                  // 00000000412C: D1010005 0001E505
	v_add_f32_e64 v6, v6, 1.0                                  // 000000004134: D1010006 0001E506
	v_add_f32_e64 v7, v7, 1.0                                  // 00000000413C: D1010007 0001E507
	v_rcp_f32_e32 v4, v4                                       // 000000004144: 7E084504
	v_rcp_f32_e32 v5, v5                                       // 000000004148: 7E0A4505
	v_rcp_f32_e32 v6, v6                                       // 00000000414C: 7E0C4506
	v_rcp_f32_e32 v7, v7                                       // 000000004150: 7E0E4507
	v_mul_f32_e32 v84, v84, v4                                 // 000000004154: 0AA80954
	v_mul_f32_e32 v85, v85, v5                                 // 000000004158: 0AAA0B55
	v_mul_f32_e32 v86, v86, v6                                 // 00000000415C: 0AAC0D56
	v_mul_f32_e32 v87, v87, v7                                 // 000000004160: 0AAE0F57
	v_mul_f32_e32 v84, v84, v108                               // 000000004164: 0AA8D954
	v_mul_f32_e32 v85, v85, v109                               // 000000004168: 0AAADB55
	v_mul_f32_e32 v86, v86, v110                               // 00000000416C: 0AACDD56
	v_mul_f32_e32 v87, v87, v111                               // 000000004170: 0AAEDF57
	v_pk_mul_f32 v[4:5], v[88:89], v[88:89]                    // 000000004174: D3B14004 1802B158
	v_pk_mul_f32 v[6:7], v[90:91], v[90:91]                    // 00000000417C: D3B14006 1802B55A
	v_pk_fma_f32 v[4:5], v[4:5], s[78:79], v[8:9]              // 000000004184: D3B04004 1C209D04
	v_pk_fma_f32 v[6:7], v[6:7], s[78:79], v[8:9]              // 00000000418C: D3B04006 1C209D06
	v_pk_mul_f32 v[4:5], v[4:5], v[88:89]                      // 000000004194: D3B14004 1802B104
	v_pk_mul_f32 v[6:7], v[6:7], v[90:91]                      // 00000000419C: D3B14006 1802B506
	v_pk_mul_f32 v[4:5], v[4:5], s[60:61]                      // 0000000041A4: D3B14004 18007904
	v_pk_mul_f32 v[6:7], v[6:7], s[60:61]                      // 0000000041AC: D3B14006 18007906
	v_exp_f32_e32 v4, v4                                       // 0000000041B4: 7E084104
	v_exp_f32_e32 v5, v5                                       // 0000000041B8: 7E0A4105
	v_exp_f32_e32 v6, v6                                       // 0000000041BC: 7E0C4106
	v_exp_f32_e32 v7, v7                                       // 0000000041C0: 7E0E4107
	v_add_f32_e64 v4, v4, 1.0                                  // 0000000041C4: D1010004 0001E504
	v_add_f32_e64 v5, v5, 1.0                                  // 0000000041CC: D1010005 0001E505
	v_add_f32_e64 v6, v6, 1.0                                  // 0000000041D4: D1010006 0001E506
	v_add_f32_e64 v7, v7, 1.0                                  // 0000000041DC: D1010007 0001E507
	v_rcp_f32_e32 v4, v4                                       // 0000000041E4: 7E084504
	v_rcp_f32_e32 v5, v5                                       // 0000000041E8: 7E0A4505
	v_rcp_f32_e32 v6, v6                                       // 0000000041EC: 7E0C4506
	v_rcp_f32_e32 v7, v7                                       // 0000000041F0: 7E0E4507
	v_mul_f32_e32 v88, v88, v4                                 // 0000000041F4: 0AB00958
	v_mul_f32_e32 v89, v89, v5                                 // 0000000041F8: 0AB20B59
	v_mul_f32_e32 v90, v90, v6                                 // 0000000041FC: 0AB40D5A
	v_mul_f32_e32 v91, v91, v7                                 // 000000004200: 0AB60F5B
	v_mul_f32_e32 v88, v88, v112                               // 000000004204: 0AB0E158
	v_mul_f32_e32 v89, v89, v113                               // 000000004208: 0AB2E359
	v_mul_f32_e32 v90, v90, v114                               // 00000000420C: 0AB4E55A
	v_mul_f32_e32 v91, v91, v115                               // 000000004210: 0AB6E75B
	s_branch label_06C6                                        // 000000004214: BF8200C0

0000000000004218 <label_0606>:
	v_mul_f32_e64 v4, -v68, s6                                 // 000000004218: D1050004 20000D44
	v_mul_f32_e64 v5, -v69, s6                                 // 000000004220: D1050005 20000D45
	v_mul_f32_e64 v6, -v70, s6                                 // 000000004228: D1050006 20000D46
	v_mul_f32_e64 v7, -v71, s6                                 // 000000004230: D1050007 20000D47
	v_exp_f32_e32 v4, v4                                       // 000000004238: 7E084104
	v_exp_f32_e32 v5, v5                                       // 00000000423C: 7E0A4105
	v_exp_f32_e32 v6, v6                                       // 000000004240: 7E0C4106
	v_exp_f32_e32 v7, v7                                       // 000000004244: 7E0E4107
	v_add_f32_e64 v4, v4, 1.0                                  // 000000004248: D1010004 0001E504
	v_add_f32_e64 v5, v5, 1.0                                  // 000000004250: D1010005 0001E505
	v_add_f32_e64 v6, v6, 1.0                                  // 000000004258: D1010006 0001E506
	v_add_f32_e64 v7, v7, 1.0                                  // 000000004260: D1010007 0001E507
	v_rcp_f32_e32 v4, v4                                       // 000000004268: 7E084504
	v_rcp_f32_e32 v5, v5                                       // 00000000426C: 7E0A4505
	v_rcp_f32_e32 v6, v6                                       // 000000004270: 7E0C4506
	v_rcp_f32_e32 v7, v7                                       // 000000004274: 7E0E4507
	v_mul_f32_e32 v68, v68, v4                                 // 000000004278: 0A880944
	v_mul_f32_e32 v69, v69, v5                                 // 00000000427C: 0A8A0B45
	v_mul_f32_e32 v70, v70, v6                                 // 000000004280: 0A8C0D46
	v_mul_f32_e32 v71, v71, v7                                 // 000000004284: 0A8E0F47
	v_mul_f32_e32 v68, v68, v92                                // 000000004288: 0A88B944
	v_mul_f32_e32 v69, v69, v93                                // 00000000428C: 0A8ABB45
	v_mul_f32_e32 v70, v70, v94                                // 000000004290: 0A8CBD46
	v_mul_f32_e32 v71, v71, v95                                // 000000004294: 0A8EBF47
	v_mul_f32_e64 v4, -v72, s6                                 // 000000004298: D1050004 20000D48
	v_mul_f32_e64 v5, -v73, s6                                 // 0000000042A0: D1050005 20000D49
	v_mul_f32_e64 v6, -v74, s6                                 // 0000000042A8: D1050006 20000D4A
	v_mul_f32_e64 v7, -v75, s6                                 // 0000000042B0: D1050007 20000D4B
	v_exp_f32_e32 v4, v4                                       // 0000000042B8: 7E084104
	v_exp_f32_e32 v5, v5                                       // 0000000042BC: 7E0A4105
	v_exp_f32_e32 v6, v6                                       // 0000000042C0: 7E0C4106
	v_exp_f32_e32 v7, v7                                       // 0000000042C4: 7E0E4107
	v_add_f32_e64 v4, v4, 1.0                                  // 0000000042C8: D1010004 0001E504
	v_add_f32_e64 v5, v5, 1.0                                  // 0000000042D0: D1010005 0001E505
	v_add_f32_e64 v6, v6, 1.0                                  // 0000000042D8: D1010006 0001E506
	v_add_f32_e64 v7, v7, 1.0                                  // 0000000042E0: D1010007 0001E507
	v_rcp_f32_e32 v4, v4                                       // 0000000042E8: 7E084504
	v_rcp_f32_e32 v5, v5                                       // 0000000042EC: 7E0A4505
	v_rcp_f32_e32 v6, v6                                       // 0000000042F0: 7E0C4506
	v_rcp_f32_e32 v7, v7                                       // 0000000042F4: 7E0E4507
	v_mul_f32_e32 v72, v72, v4                                 // 0000000042F8: 0A900948
	v_mul_f32_e32 v73, v73, v5                                 // 0000000042FC: 0A920B49
	v_mul_f32_e32 v74, v74, v6                                 // 000000004300: 0A940D4A
	v_mul_f32_e32 v75, v75, v7                                 // 000000004304: 0A960F4B
	v_mul_f32_e32 v72, v72, v96                                // 000000004308: 0A90C148
	v_mul_f32_e32 v73, v73, v97                                // 00000000430C: 0A92C349
	v_mul_f32_e32 v74, v74, v98                                // 000000004310: 0A94C54A
	v_mul_f32_e32 v75, v75, v99                                // 000000004314: 0A96C74B
	v_mul_f32_e64 v4, -v76, s6                                 // 000000004318: D1050004 20000D4C
	v_mul_f32_e64 v5, -v77, s6                                 // 000000004320: D1050005 20000D4D
	v_mul_f32_e64 v6, -v78, s6                                 // 000000004328: D1050006 20000D4E
	v_mul_f32_e64 v7, -v79, s6                                 // 000000004330: D1050007 20000D4F
	v_exp_f32_e32 v4, v4                                       // 000000004338: 7E084104
	v_exp_f32_e32 v5, v5                                       // 00000000433C: 7E0A4105
	v_exp_f32_e32 v6, v6                                       // 000000004340: 7E0C4106
	v_exp_f32_e32 v7, v7                                       // 000000004344: 7E0E4107
	v_add_f32_e64 v4, v4, 1.0                                  // 000000004348: D1010004 0001E504
	v_add_f32_e64 v5, v5, 1.0                                  // 000000004350: D1010005 0001E505
	v_add_f32_e64 v6, v6, 1.0                                  // 000000004358: D1010006 0001E506
	v_add_f32_e64 v7, v7, 1.0                                  // 000000004360: D1010007 0001E507
	v_rcp_f32_e32 v4, v4                                       // 000000004368: 7E084504
	v_rcp_f32_e32 v5, v5                                       // 00000000436C: 7E0A4505
	v_rcp_f32_e32 v6, v6                                       // 000000004370: 7E0C4506
	v_rcp_f32_e32 v7, v7                                       // 000000004374: 7E0E4507
	v_mul_f32_e32 v76, v76, v4                                 // 000000004378: 0A98094C
	v_mul_f32_e32 v77, v77, v5                                 // 00000000437C: 0A9A0B4D
	v_mul_f32_e32 v78, v78, v6                                 // 000000004380: 0A9C0D4E
	v_mul_f32_e32 v79, v79, v7                                 // 000000004384: 0A9E0F4F
	v_mul_f32_e32 v76, v76, v100                               // 000000004388: 0A98C94C
	v_mul_f32_e32 v77, v77, v101                               // 00000000438C: 0A9ACB4D
	v_mul_f32_e32 v78, v78, v102                               // 000000004390: 0A9CCD4E
	v_mul_f32_e32 v79, v79, v103                               // 000000004394: 0A9ECF4F
	v_mul_f32_e64 v4, -v80, s6                                 // 000000004398: D1050004 20000D50
	v_mul_f32_e64 v5, -v81, s6                                 // 0000000043A0: D1050005 20000D51
	v_mul_f32_e64 v6, -v82, s6                                 // 0000000043A8: D1050006 20000D52
	v_mul_f32_e64 v7, -v83, s6                                 // 0000000043B0: D1050007 20000D53
	v_exp_f32_e32 v4, v4                                       // 0000000043B8: 7E084104
	v_exp_f32_e32 v5, v5                                       // 0000000043BC: 7E0A4105
	v_exp_f32_e32 v6, v6                                       // 0000000043C0: 7E0C4106
	v_exp_f32_e32 v7, v7                                       // 0000000043C4: 7E0E4107
	v_add_f32_e64 v4, v4, 1.0                                  // 0000000043C8: D1010004 0001E504
	v_add_f32_e64 v5, v5, 1.0                                  // 0000000043D0: D1010005 0001E505
	v_add_f32_e64 v6, v6, 1.0                                  // 0000000043D8: D1010006 0001E506
	v_add_f32_e64 v7, v7, 1.0                                  // 0000000043E0: D1010007 0001E507
	v_rcp_f32_e32 v4, v4                                       // 0000000043E8: 7E084504
	v_rcp_f32_e32 v5, v5                                       // 0000000043EC: 7E0A4505
	v_rcp_f32_e32 v6, v6                                       // 0000000043F0: 7E0C4506
	v_rcp_f32_e32 v7, v7                                       // 0000000043F4: 7E0E4507
	v_mul_f32_e32 v80, v80, v4                                 // 0000000043F8: 0AA00950
	v_mul_f32_e32 v81, v81, v5                                 // 0000000043FC: 0AA20B51
	v_mul_f32_e32 v82, v82, v6                                 // 000000004400: 0AA40D52
	v_mul_f32_e32 v83, v83, v7                                 // 000000004404: 0AA60F53
	v_mul_f32_e32 v80, v80, v104                               // 000000004408: 0AA0D150
	v_mul_f32_e32 v81, v81, v105                               // 00000000440C: 0AA2D351
	v_mul_f32_e32 v82, v82, v106                               // 000000004410: 0AA4D552
	v_mul_f32_e32 v83, v83, v107                               // 000000004414: 0AA6D753
	v_mul_f32_e64 v4, -v84, s6                                 // 000000004418: D1050004 20000D54
	v_mul_f32_e64 v5, -v85, s6                                 // 000000004420: D1050005 20000D55
	v_mul_f32_e64 v6, -v86, s6                                 // 000000004428: D1050006 20000D56
	v_mul_f32_e64 v7, -v87, s6                                 // 000000004430: D1050007 20000D57
	v_exp_f32_e32 v4, v4                                       // 000000004438: 7E084104
	v_exp_f32_e32 v5, v5                                       // 00000000443C: 7E0A4105
	v_exp_f32_e32 v6, v6                                       // 000000004440: 7E0C4106
	v_exp_f32_e32 v7, v7                                       // 000000004444: 7E0E4107
	v_add_f32_e64 v4, v4, 1.0                                  // 000000004448: D1010004 0001E504
	v_add_f32_e64 v5, v5, 1.0                                  // 000000004450: D1010005 0001E505
	v_add_f32_e64 v6, v6, 1.0                                  // 000000004458: D1010006 0001E506
	v_add_f32_e64 v7, v7, 1.0                                  // 000000004460: D1010007 0001E507
	v_rcp_f32_e32 v4, v4                                       // 000000004468: 7E084504
	v_rcp_f32_e32 v5, v5                                       // 00000000446C: 7E0A4505
	v_rcp_f32_e32 v6, v6                                       // 000000004470: 7E0C4506
	v_rcp_f32_e32 v7, v7                                       // 000000004474: 7E0E4507
	v_mul_f32_e32 v84, v84, v4                                 // 000000004478: 0AA80954
	v_mul_f32_e32 v85, v85, v5                                 // 00000000447C: 0AAA0B55
	v_mul_f32_e32 v86, v86, v6                                 // 000000004480: 0AAC0D56
	v_mul_f32_e32 v87, v87, v7                                 // 000000004484: 0AAE0F57
	v_mul_f32_e32 v84, v84, v108                               // 000000004488: 0AA8D954
	v_mul_f32_e32 v85, v85, v109                               // 00000000448C: 0AAADB55
	v_mul_f32_e32 v86, v86, v110                               // 000000004490: 0AACDD56
	v_mul_f32_e32 v87, v87, v111                               // 000000004494: 0AAEDF57
	v_mul_f32_e64 v4, -v88, s6                                 // 000000004498: D1050004 20000D58
	v_mul_f32_e64 v5, -v89, s6                                 // 0000000044A0: D1050005 20000D59
	v_mul_f32_e64 v6, -v90, s6                                 // 0000000044A8: D1050006 20000D5A
	v_mul_f32_e64 v7, -v91, s6                                 // 0000000044B0: D1050007 20000D5B
	v_exp_f32_e32 v4, v4                                       // 0000000044B8: 7E084104
	v_exp_f32_e32 v5, v5                                       // 0000000044BC: 7E0A4105
	v_exp_f32_e32 v6, v6                                       // 0000000044C0: 7E0C4106
	v_exp_f32_e32 v7, v7                                       // 0000000044C4: 7E0E4107
	v_add_f32_e64 v4, v4, 1.0                                  // 0000000044C8: D1010004 0001E504
	v_add_f32_e64 v5, v5, 1.0                                  // 0000000044D0: D1010005 0001E505
	v_add_f32_e64 v6, v6, 1.0                                  // 0000000044D8: D1010006 0001E506
	v_add_f32_e64 v7, v7, 1.0                                  // 0000000044E0: D1010007 0001E507
	v_rcp_f32_e32 v4, v4                                       // 0000000044E8: 7E084504
	v_rcp_f32_e32 v5, v5                                       // 0000000044EC: 7E0A4505
	v_rcp_f32_e32 v6, v6                                       // 0000000044F0: 7E0C4506
	v_rcp_f32_e32 v7, v7                                       // 0000000044F4: 7E0E4507
	v_mul_f32_e32 v88, v88, v4                                 // 0000000044F8: 0AB00958
	v_mul_f32_e32 v89, v89, v5                                 // 0000000044FC: 0AB20B59
	v_mul_f32_e32 v90, v90, v6                                 // 000000004500: 0AB40D5A
	v_mul_f32_e32 v91, v91, v7                                 // 000000004504: 0AB60F5B
	v_mul_f32_e32 v88, v88, v112                               // 000000004508: 0AB0E158
	v_mul_f32_e32 v89, v89, v113                               // 00000000450C: 0AB2E359
	v_mul_f32_e32 v90, v90, v114                               // 000000004510: 0AB4E55A
	v_mul_f32_e32 v91, v91, v115                               // 000000004514: 0AB6E75B

0000000000004518 <label_06C6>:
	v_cmp_u_f32_e64 s[46:47], v68, v68                         // 000000004518: D048002E 00028944
	v_add3_u32 v16, v68, v19, 1                                // 000000004520: D1FF0010 02062744
	v_cndmask_b32_e64 v4, v16, v18, s[46:47]                   // 000000004528: D1000004 00BA2510
	v_cmp_u_f32_e64 s[46:47], v69, v69                         // 000000004530: D048002E 00028B45
	v_add3_u32 v16, v69, v19, 1                                // 000000004538: D1FF0010 02062745
	v_cndmask_b32_e64 v5, v16, v18, s[46:47]                   // 000000004540: D1000005 00BA2510
	v_perm_b32 v68, v5, v4, s52                                // 000000004548: D1ED0044 00D20905
	v_cmp_u_f32_e64 s[46:47], v70, v70                         // 000000004550: D048002E 00028D46
	v_add3_u32 v16, v70, v19, 1                                // 000000004558: D1FF0010 02062746
	v_cndmask_b32_e64 v4, v16, v18, s[46:47]                   // 000000004560: D1000004 00BA2510
	v_cmp_u_f32_e64 s[46:47], v71, v71                         // 000000004568: D048002E 00028F47
	v_add3_u32 v16, v71, v19, 1                                // 000000004570: D1FF0010 02062747
	v_cndmask_b32_e64 v5, v16, v18, s[46:47]                   // 000000004578: D1000005 00BA2510
	v_perm_b32 v69, v5, v4, s52                                // 000000004580: D1ED0045 00D20905
	v_cmp_u_f32_e64 s[46:47], v72, v72                         // 000000004588: D048002E 00029148
	v_add3_u32 v16, v72, v19, 1                                // 000000004590: D1FF0010 02062748
	v_cndmask_b32_e64 v4, v16, v18, s[46:47]                   // 000000004598: D1000004 00BA2510
	v_cmp_u_f32_e64 s[46:47], v73, v73                         // 0000000045A0: D048002E 00029349
	v_add3_u32 v16, v73, v19, 1                                // 0000000045A8: D1FF0010 02062749
	v_cndmask_b32_e64 v5, v16, v18, s[46:47]                   // 0000000045B0: D1000005 00BA2510
	v_perm_b32 v70, v5, v4, s52                                // 0000000045B8: D1ED0046 00D20905
	v_cmp_u_f32_e64 s[46:47], v74, v74                         // 0000000045C0: D048002E 0002954A
	v_add3_u32 v16, v74, v19, 1                                // 0000000045C8: D1FF0010 0206274A
	v_cndmask_b32_e64 v4, v16, v18, s[46:47]                   // 0000000045D0: D1000004 00BA2510
	v_cmp_u_f32_e64 s[46:47], v75, v75                         // 0000000045D8: D048002E 0002974B
	v_add3_u32 v16, v75, v19, 1                                // 0000000045E0: D1FF0010 0206274B
	v_cndmask_b32_e64 v5, v16, v18, s[46:47]                   // 0000000045E8: D1000005 00BA2510
	v_perm_b32 v71, v5, v4, s52                                // 0000000045F0: D1ED0047 00D20905
	v_cmp_u_f32_e64 s[46:47], v76, v76                         // 0000000045F8: D048002E 0002994C
	v_add3_u32 v16, v76, v19, 1                                // 000000004600: D1FF0010 0206274C
	v_cndmask_b32_e64 v4, v16, v18, s[46:47]                   // 000000004608: D1000004 00BA2510
	v_cmp_u_f32_e64 s[46:47], v77, v77                         // 000000004610: D048002E 00029B4D
	v_add3_u32 v16, v77, v19, 1                                // 000000004618: D1FF0010 0206274D
	v_cndmask_b32_e64 v5, v16, v18, s[46:47]                   // 000000004620: D1000005 00BA2510
	v_perm_b32 v72, v5, v4, s52                                // 000000004628: D1ED0048 00D20905
	v_cmp_u_f32_e64 s[46:47], v78, v78                         // 000000004630: D048002E 00029D4E
	v_add3_u32 v16, v78, v19, 1                                // 000000004638: D1FF0010 0206274E
	v_cndmask_b32_e64 v4, v16, v18, s[46:47]                   // 000000004640: D1000004 00BA2510
	v_cmp_u_f32_e64 s[46:47], v79, v79                         // 000000004648: D048002E 00029F4F
	v_add3_u32 v16, v79, v19, 1                                // 000000004650: D1FF0010 0206274F
	v_cndmask_b32_e64 v5, v16, v18, s[46:47]                   // 000000004658: D1000005 00BA2510
	v_perm_b32 v73, v5, v4, s52                                // 000000004660: D1ED0049 00D20905
	v_cmp_u_f32_e64 s[46:47], v80, v80                         // 000000004668: D048002E 0002A150
	v_add3_u32 v16, v80, v19, 1                                // 000000004670: D1FF0010 02062750
	v_cndmask_b32_e64 v4, v16, v18, s[46:47]                   // 000000004678: D1000004 00BA2510
	v_cmp_u_f32_e64 s[46:47], v81, v81                         // 000000004680: D048002E 0002A351
	v_add3_u32 v16, v81, v19, 1                                // 000000004688: D1FF0010 02062751
	v_cndmask_b32_e64 v5, v16, v18, s[46:47]                   // 000000004690: D1000005 00BA2510
	v_perm_b32 v74, v5, v4, s52                                // 000000004698: D1ED004A 00D20905
	v_cmp_u_f32_e64 s[46:47], v82, v82                         // 0000000046A0: D048002E 0002A552
	v_add3_u32 v16, v82, v19, 1                                // 0000000046A8: D1FF0010 02062752
	v_cndmask_b32_e64 v4, v16, v18, s[46:47]                   // 0000000046B0: D1000004 00BA2510
	v_cmp_u_f32_e64 s[46:47], v83, v83                         // 0000000046B8: D048002E 0002A753
	v_add3_u32 v16, v83, v19, 1                                // 0000000046C0: D1FF0010 02062753
	v_cndmask_b32_e64 v5, v16, v18, s[46:47]                   // 0000000046C8: D1000005 00BA2510
	v_perm_b32 v75, v5, v4, s52                                // 0000000046D0: D1ED004B 00D20905
	v_cmp_u_f32_e64 s[46:47], v84, v84                         // 0000000046D8: D048002E 0002A954
	v_add3_u32 v16, v84, v19, 1                                // 0000000046E0: D1FF0010 02062754
	v_cndmask_b32_e64 v4, v16, v18, s[46:47]                   // 0000000046E8: D1000004 00BA2510
	v_cmp_u_f32_e64 s[46:47], v85, v85                         // 0000000046F0: D048002E 0002AB55
	v_add3_u32 v16, v85, v19, 1                                // 0000000046F8: D1FF0010 02062755
	v_cndmask_b32_e64 v5, v16, v18, s[46:47]                   // 000000004700: D1000005 00BA2510
	v_perm_b32 v76, v5, v4, s52                                // 000000004708: D1ED004C 00D20905
	v_cmp_u_f32_e64 s[46:47], v86, v86                         // 000000004710: D048002E 0002AD56
	v_add3_u32 v16, v86, v19, 1                                // 000000004718: D1FF0010 02062756
	v_cndmask_b32_e64 v4, v16, v18, s[46:47]                   // 000000004720: D1000004 00BA2510
	v_cmp_u_f32_e64 s[46:47], v87, v87                         // 000000004728: D048002E 0002AF57
	v_add3_u32 v16, v87, v19, 1                                // 000000004730: D1FF0010 02062757
	v_cndmask_b32_e64 v5, v16, v18, s[46:47]                   // 000000004738: D1000005 00BA2510
	v_perm_b32 v77, v5, v4, s52                                // 000000004740: D1ED004D 00D20905
	v_cmp_u_f32_e64 s[46:47], v88, v88                         // 000000004748: D048002E 0002B158
	v_add3_u32 v16, v88, v19, 1                                // 000000004750: D1FF0010 02062758
	v_cndmask_b32_e64 v4, v16, v18, s[46:47]                   // 000000004758: D1000004 00BA2510
	v_cmp_u_f32_e64 s[46:47], v89, v89                         // 000000004760: D048002E 0002B359
	v_add3_u32 v16, v89, v19, 1                                // 000000004768: D1FF0010 02062759
	v_cndmask_b32_e64 v5, v16, v18, s[46:47]                   // 000000004770: D1000005 00BA2510
	v_perm_b32 v78, v5, v4, s52                                // 000000004778: D1ED004E 00D20905
	v_cmp_u_f32_e64 s[46:47], v90, v90                         // 000000004780: D048002E 0002B55A
	v_add3_u32 v16, v90, v19, 1                                // 000000004788: D1FF0010 0206275A
	v_cndmask_b32_e64 v4, v16, v18, s[46:47]                   // 000000004790: D1000004 00BA2510
	v_cmp_u_f32_e64 s[46:47], v91, v91                         // 000000004798: D048002E 0002B75B
	v_add3_u32 v16, v91, v19, 1                                // 0000000047A0: D1FF0010 0206275B
	v_cndmask_b32_e64 v5, v16, v18, s[46:47]                   // 0000000047A8: D1000005 00BA2510
	v_perm_b32 v79, v5, v4, s52                                // 0000000047B0: D1ED004F 00D20905
	ds_write_b64 v20, v[68:69]                                 // 0000000047B8: D89A0000 00004414
	ds_write_b64 v20, v[70:71] offset:2176                     // 0000000047C0: D89A0880 00004614
	ds_write_b64 v20, v[72:73] offset:4352                     // 0000000047C8: D89A1100 00004814
	ds_write_b64 v20, v[74:75] offset:6528                     // 0000000047D0: D89A1980 00004A14
	ds_write_b64 v20, v[76:77] offset:8704                     // 0000000047D8: D89A2200 00004C14
	ds_write_b64 v20, v[78:79] offset:10880                    // 0000000047E0: D89A2A80 00004E14
	v_lshrrev_b32_e32 v4, 5, v0                                // 0000000047E8: 20080085
	v_xor_b32_e32 v5, 1, v4                                    // 0000000047EC: 2A0A0881
	s_mul_i32 s60, s65, 2                                      // 0000000047F0: 923C8241
	s_cmp_eq_u32 s88, 0                                        // 0000000047F4: BF068058
	s_cselect_b32 s61, 1, 4                                    // 0000000047F8: 853D8481
	s_mul_i32 s60, s61, s60                                    // 0000000047FC: 923C3C3D
	v_readlane_b32 s82, v3, 0                                  // 000000004800: D2890052 00010103
	s_lshr_b32 s61, s82, 24                                    // 000000004808: 8F3D9852
	s_and_b32 s82, s82, 0xffffff                               // 00000000480C: 8652FF52 00FFFFFF
	s_mul_i32 s82, s82, s71                                    // 000000004814: 92524752
	s_mul_i32 s61, s60, s61                                    // 000000004818: 923D3D3C
	s_add_u32 s82, s82, s61                                    // 00000000481C: 80523D52
	v_mul_lo_u32 v6, v5, s82                                   // 000000004820: D2850006 0000A505
	v_readlane_b32 s82, v3, 1                                  // 000000004828: D2890052 00010303
	s_lshr_b32 s61, s82, 24                                    // 000000004830: 8F3D9852
	s_and_b32 s82, s82, 0xffffff                               // 000000004834: 8652FF52 00FFFFFF
	s_mul_i32 s82, s82, s71                                    // 00000000483C: 92524752
	s_mul_i32 s61, s60, s61                                    // 000000004840: 923D3D3C
	s_add_u32 s82, s82, s61                                    // 000000004844: 80523D52
	v_mul_lo_u32 v7, v4, s82                                   // 000000004848: D2850007 0000A504
	v_add_u32_e32 v52, v6, v7                                  // 000000004850: 68680F06
	v_readlane_b32 s82, v3, 2                                  // 000000004854: D2890052 00010503
	s_lshr_b32 s61, s82, 24                                    // 00000000485C: 8F3D9852
	s_and_b32 s82, s82, 0xffffff                               // 000000004860: 8652FF52 00FFFFFF
	s_mul_i32 s82, s82, s71                                    // 000000004868: 92524752
	s_mul_i32 s61, s60, s61                                    // 00000000486C: 923D3D3C
	s_add_u32 s82, s82, s61                                    // 000000004870: 80523D52
	v_mul_lo_u32 v6, v5, s82                                   // 000000004874: D2850006 0000A505
	v_readlane_b32 s82, v3, 3                                  // 00000000487C: D2890052 00010703
	s_lshr_b32 s61, s82, 24                                    // 000000004884: 8F3D9852
	s_and_b32 s82, s82, 0xffffff                               // 000000004888: 8652FF52 00FFFFFF
	s_mul_i32 s82, s82, s71                                    // 000000004890: 92524752
	s_mul_i32 s61, s60, s61                                    // 000000004894: 923D3D3C
	s_add_u32 s82, s82, s61                                    // 000000004898: 80523D52
	v_mul_lo_u32 v7, v4, s82                                   // 00000000489C: D2850007 0000A504
	v_add_u32_e32 v53, v6, v7                                  // 0000000048A4: 686A0F06
	v_readlane_b32 s82, v3, 4                                  // 0000000048A8: D2890052 00010903
	s_lshr_b32 s61, s82, 24                                    // 0000000048B0: 8F3D9852
	s_and_b32 s82, s82, 0xffffff                               // 0000000048B4: 8652FF52 00FFFFFF
	s_mul_i32 s82, s82, s71                                    // 0000000048BC: 92524752
	s_mul_i32 s61, s60, s61                                    // 0000000048C0: 923D3D3C
	s_add_u32 s82, s82, s61                                    // 0000000048C4: 80523D52
	v_mul_lo_u32 v6, v5, s82                                   // 0000000048C8: D2850006 0000A505
	v_readlane_b32 s82, v3, 5                                  // 0000000048D0: D2890052 00010B03
	s_lshr_b32 s61, s82, 24                                    // 0000000048D8: 8F3D9852
	s_and_b32 s82, s82, 0xffffff                               // 0000000048DC: 8652FF52 00FFFFFF
	s_mul_i32 s82, s82, s71                                    // 0000000048E4: 92524752
	s_mul_i32 s61, s60, s61                                    // 0000000048E8: 923D3D3C
	s_add_u32 s82, s82, s61                                    // 0000000048EC: 80523D52
	v_mul_lo_u32 v7, v4, s82                                   // 0000000048F0: D2850007 0000A504
	v_add_u32_e32 v54, v6, v7                                  // 0000000048F8: 686C0F06
	v_readlane_b32 s82, v3, 6                                  // 0000000048FC: D2890052 00010D03
	s_lshr_b32 s61, s82, 24                                    // 000000004904: 8F3D9852
	s_and_b32 s82, s82, 0xffffff                               // 000000004908: 8652FF52 00FFFFFF
	s_mul_i32 s82, s82, s71                                    // 000000004910: 92524752
	s_mul_i32 s61, s60, s61                                    // 000000004914: 923D3D3C
	s_add_u32 s82, s82, s61                                    // 000000004918: 80523D52
	v_mul_lo_u32 v6, v5, s82                                   // 00000000491C: D2850006 0000A505
	v_readlane_b32 s82, v3, 7                                  // 000000004924: D2890052 00010F03
	s_lshr_b32 s61, s82, 24                                    // 00000000492C: 8F3D9852
	s_and_b32 s82, s82, 0xffffff                               // 000000004930: 8652FF52 00FFFFFF
	s_mul_i32 s82, s82, s71                                    // 000000004938: 92524752
	s_mul_i32 s61, s60, s61                                    // 00000000493C: 923D3D3C
	s_add_u32 s82, s82, s61                                    // 000000004940: 80523D52
	v_mul_lo_u32 v7, v4, s82                                   // 000000004944: D2850007 0000A504
	v_add_u32_e32 v55, v6, v7                                  // 00000000494C: 686E0F06
	v_readlane_b32 s82, v3, 8                                  // 000000004950: D2890052 00011103
	s_lshr_b32 s61, s82, 24                                    // 000000004958: 8F3D9852
	s_and_b32 s82, s82, 0xffffff                               // 00000000495C: 8652FF52 00FFFFFF
	s_mul_i32 s82, s82, s71                                    // 000000004964: 92524752
	s_mul_i32 s61, s60, s61                                    // 000000004968: 923D3D3C
	s_add_u32 s82, s82, s61                                    // 00000000496C: 80523D52
	v_mul_lo_u32 v6, v5, s82                                   // 000000004970: D2850006 0000A505
	v_readlane_b32 s82, v3, 9                                  // 000000004978: D2890052 00011303
	s_lshr_b32 s61, s82, 24                                    // 000000004980: 8F3D9852
	s_and_b32 s82, s82, 0xffffff                               // 000000004984: 8652FF52 00FFFFFF
	s_mul_i32 s82, s82, s71                                    // 00000000498C: 92524752
	s_mul_i32 s61, s60, s61                                    // 000000004990: 923D3D3C
	s_add_u32 s82, s82, s61                                    // 000000004994: 80523D52
	v_mul_lo_u32 v7, v4, s82                                   // 000000004998: D2850007 0000A504
	v_add_u32_e32 v56, v6, v7                                  // 0000000049A0: 68700F06
	v_readlane_b32 s82, v3, 10                                 // 0000000049A4: D2890052 00011503
	s_lshr_b32 s61, s82, 24                                    // 0000000049AC: 8F3D9852
	s_and_b32 s82, s82, 0xffffff                               // 0000000049B0: 8652FF52 00FFFFFF
	s_mul_i32 s82, s82, s71                                    // 0000000049B8: 92524752
	s_mul_i32 s61, s60, s61                                    // 0000000049BC: 923D3D3C
	s_add_u32 s82, s82, s61                                    // 0000000049C0: 80523D52
	v_mul_lo_u32 v6, v5, s82                                   // 0000000049C4: D2850006 0000A505
	v_readlane_b32 s82, v3, 11                                 // 0000000049CC: D2890052 00011703
	s_lshr_b32 s61, s82, 24                                    // 0000000049D4: 8F3D9852
	s_and_b32 s82, s82, 0xffffff                               // 0000000049D8: 8652FF52 00FFFFFF
	s_mul_i32 s82, s82, s71                                    // 0000000049E0: 92524752
	s_mul_i32 s61, s60, s61                                    // 0000000049E4: 923D3D3C
	s_add_u32 s82, s82, s61                                    // 0000000049E8: 80523D52
	v_mul_lo_u32 v7, v4, s82                                   // 0000000049EC: D2850007 0000A504
	v_add_u32_e32 v57, v6, v7                                  // 0000000049F4: 68720F06
	v_readlane_b32 s82, v3, 12                                 // 0000000049F8: D2890052 00011903
	s_lshr_b32 s61, s82, 24                                    // 000000004A00: 8F3D9852
	s_and_b32 s82, s82, 0xffffff                               // 000000004A04: 8652FF52 00FFFFFF
	s_mul_i32 s82, s82, s71                                    // 000000004A0C: 92524752
	s_mul_i32 s61, s60, s61                                    // 000000004A10: 923D3D3C
	s_add_u32 s82, s82, s61                                    // 000000004A14: 80523D52
	v_mul_lo_u32 v6, v5, s82                                   // 000000004A18: D2850006 0000A505
	v_readlane_b32 s82, v3, 13                                 // 000000004A20: D2890052 00011B03
	s_lshr_b32 s61, s82, 24                                    // 000000004A28: 8F3D9852
	s_and_b32 s82, s82, 0xffffff                               // 000000004A2C: 8652FF52 00FFFFFF
	s_mul_i32 s82, s82, s71                                    // 000000004A34: 92524752
	s_mul_i32 s61, s60, s61                                    // 000000004A38: 923D3D3C
	s_add_u32 s82, s82, s61                                    // 000000004A3C: 80523D52
	v_mul_lo_u32 v7, v4, s82                                   // 000000004A40: D2850007 0000A504
	v_add_u32_e32 v58, v6, v7                                  // 000000004A48: 68740F06
	v_readlane_b32 s82, v3, 14                                 // 000000004A4C: D2890052 00011D03
	s_lshr_b32 s61, s82, 24                                    // 000000004A54: 8F3D9852
	s_and_b32 s82, s82, 0xffffff                               // 000000004A58: 8652FF52 00FFFFFF
	s_mul_i32 s82, s82, s71                                    // 000000004A60: 92524752
	s_mul_i32 s61, s60, s61                                    // 000000004A64: 923D3D3C
	s_add_u32 s82, s82, s61                                    // 000000004A68: 80523D52
	v_mul_lo_u32 v6, v5, s82                                   // 000000004A6C: D2850006 0000A505
	v_readlane_b32 s82, v3, 15                                 // 000000004A74: D2890052 00011F03
	s_lshr_b32 s61, s82, 24                                    // 000000004A7C: 8F3D9852
	s_and_b32 s82, s82, 0xffffff                               // 000000004A80: 8652FF52 00FFFFFF
	s_mul_i32 s82, s82, s71                                    // 000000004A88: 92524752
	s_mul_i32 s61, s60, s61                                    // 000000004A8C: 923D3D3C
	s_add_u32 s82, s82, s61                                    // 000000004A90: 80523D52
	v_mul_lo_u32 v7, v4, s82                                   // 000000004A94: D2850007 0000A504
	v_add_u32_e32 v59, v6, v7                                  // 000000004A9C: 68760F06
	v_readlane_b32 s82, v3, 16                                 // 000000004AA0: D2890052 00012103
	s_lshr_b32 s61, s82, 24                                    // 000000004AA8: 8F3D9852
	s_and_b32 s82, s82, 0xffffff                               // 000000004AAC: 8652FF52 00FFFFFF
	s_mul_i32 s82, s82, s71                                    // 000000004AB4: 92524752
	s_mul_i32 s61, s60, s61                                    // 000000004AB8: 923D3D3C
	s_add_u32 s82, s82, s61                                    // 000000004ABC: 80523D52
	v_mul_lo_u32 v6, v5, s82                                   // 000000004AC0: D2850006 0000A505
	v_readlane_b32 s82, v3, 17                                 // 000000004AC8: D2890052 00012303
	s_lshr_b32 s61, s82, 24                                    // 000000004AD0: 8F3D9852
	s_and_b32 s82, s82, 0xffffff                               // 000000004AD4: 8652FF52 00FFFFFF
	s_mul_i32 s82, s82, s71                                    // 000000004ADC: 92524752
	s_mul_i32 s61, s60, s61                                    // 000000004AE0: 923D3D3C
	s_add_u32 s82, s82, s61                                    // 000000004AE4: 80523D52
	v_mul_lo_u32 v7, v4, s82                                   // 000000004AE8: D2850007 0000A504
	v_add_u32_e32 v60, v6, v7                                  // 000000004AF0: 68780F06
	v_readlane_b32 s82, v3, 18                                 // 000000004AF4: D2890052 00012503
	s_lshr_b32 s61, s82, 24                                    // 000000004AFC: 8F3D9852
	s_and_b32 s82, s82, 0xffffff                               // 000000004B00: 8652FF52 00FFFFFF
	s_mul_i32 s82, s82, s71                                    // 000000004B08: 92524752
	s_mul_i32 s61, s60, s61                                    // 000000004B0C: 923D3D3C
	s_add_u32 s82, s82, s61                                    // 000000004B10: 80523D52
	v_mul_lo_u32 v6, v5, s82                                   // 000000004B14: D2850006 0000A505
	v_readlane_b32 s82, v3, 19                                 // 000000004B1C: D2890052 00012703
	s_lshr_b32 s61, s82, 24                                    // 000000004B24: 8F3D9852
	s_and_b32 s82, s82, 0xffffff                               // 000000004B28: 8652FF52 00FFFFFF
	s_mul_i32 s82, s82, s71                                    // 000000004B30: 92524752
	s_mul_i32 s61, s60, s61                                    // 000000004B34: 923D3D3C
	s_add_u32 s82, s82, s61                                    // 000000004B38: 80523D52
	v_mul_lo_u32 v7, v4, s82                                   // 000000004B3C: D2850007 0000A504
	v_add_u32_e32 v61, v6, v7                                  // 000000004B44: 687A0F06
	v_readlane_b32 s82, v3, 20                                 // 000000004B48: D2890052 00012903
	s_lshr_b32 s61, s82, 24                                    // 000000004B50: 8F3D9852
	s_and_b32 s82, s82, 0xffffff                               // 000000004B54: 8652FF52 00FFFFFF
	s_mul_i32 s82, s82, s71                                    // 000000004B5C: 92524752
	s_mul_i32 s61, s60, s61                                    // 000000004B60: 923D3D3C
	s_add_u32 s82, s82, s61                                    // 000000004B64: 80523D52
	v_mul_lo_u32 v6, v5, s82                                   // 000000004B68: D2850006 0000A505
	v_readlane_b32 s82, v3, 21                                 // 000000004B70: D2890052 00012B03
	s_lshr_b32 s61, s82, 24                                    // 000000004B78: 8F3D9852
	s_and_b32 s82, s82, 0xffffff                               // 000000004B7C: 8652FF52 00FFFFFF
	s_mul_i32 s82, s82, s71                                    // 000000004B84: 92524752
	s_mul_i32 s61, s60, s61                                    // 000000004B88: 923D3D3C
	s_add_u32 s82, s82, s61                                    // 000000004B8C: 80523D52
	v_mul_lo_u32 v7, v4, s82                                   // 000000004B90: D2850007 0000A504
	v_add_u32_e32 v62, v6, v7                                  // 000000004B98: 687C0F06
	v_readlane_b32 s82, v3, 22                                 // 000000004B9C: D2890052 00012D03
	s_lshr_b32 s61, s82, 24                                    // 000000004BA4: 8F3D9852
	s_and_b32 s82, s82, 0xffffff                               // 000000004BA8: 8652FF52 00FFFFFF
	s_mul_i32 s82, s82, s71                                    // 000000004BB0: 92524752
	s_mul_i32 s61, s60, s61                                    // 000000004BB4: 923D3D3C
	s_add_u32 s82, s82, s61                                    // 000000004BB8: 80523D52
	v_mul_lo_u32 v6, v5, s82                                   // 000000004BBC: D2850006 0000A505
	v_readlane_b32 s82, v3, 23                                 // 000000004BC4: D2890052 00012F03
	s_lshr_b32 s61, s82, 24                                    // 000000004BCC: 8F3D9852
	s_and_b32 s82, s82, 0xffffff                               // 000000004BD0: 8652FF52 00FFFFFF
	s_mul_i32 s82, s82, s71                                    // 000000004BD8: 92524752
	s_mul_i32 s61, s60, s61                                    // 000000004BDC: 923D3D3C
	s_add_u32 s82, s82, s61                                    // 000000004BE0: 80523D52
	v_mul_lo_u32 v7, v4, s82                                   // 000000004BE4: D2850007 0000A504
	v_add_u32_e32 v63, v6, v7                                  // 000000004BEC: 687E0F06
	v_and_b32_e32 v4, 31, v0                                   // 000000004BF0: 2608009F
	v_lshrrev_b32_e32 v4, 1, v4                                // 000000004BF4: 20080881
	s_cmp_eq_u32 s88, 0                                        // 000000004BF8: BF068058
	s_cselect_b32 s61, 2, 4                                    // 000000004BFC: 853D8482
	v_mul_lo_u32 v4, v4, s61                                   // 000000004C00: D2850004 00007B04
	v_and_b32_e64 v5, v0, 1                                    // 000000004C08: D1130005 00010300
	v_add_u32_e32 v4, v4, v5                                   // 000000004C10: 68080B04
	v_lshlrev_b32_e32 v4, 2, v4                                // 000000004C14: 24080882
	v_add_u32_e32 v52, v52, v4                                 // 000000004C18: 68680934
	v_add_u32_e32 v53, v53, v4                                 // 000000004C1C: 686A0935
	v_add_u32_e32 v54, v54, v4                                 // 000000004C20: 686C0936
	v_add_u32_e32 v55, v55, v4                                 // 000000004C24: 686E0937
	v_add_u32_e32 v56, v56, v4                                 // 000000004C28: 68700938
	v_add_u32_e32 v57, v57, v4                                 // 000000004C2C: 68720939
	v_add_u32_e32 v58, v58, v4                                 // 000000004C30: 6874093A
	v_add_u32_e32 v59, v59, v4                                 // 000000004C34: 6876093B
	v_add_u32_e32 v60, v60, v4                                 // 000000004C38: 6878093C
	v_add_u32_e32 v61, v61, v4                                 // 000000004C3C: 687A093D
	v_add_u32_e32 v62, v62, v4                                 // 000000004C40: 687C093E
	v_add_u32_e32 v63, v63, v4                                 // 000000004C44: 687E093F
	s_waitcnt lgkmcnt(0)                                       // 000000004C48: BF8CC07F
	s_barrier                                                  // 000000004C4C: BF8A0000
	ds_read_b32 v68, v21                                       // 000000004C50: D86C0000 44000015
	ds_read_b32 v69, v21 offset:64                             // 000000004C58: D86C0040 45000015
	ds_read_b32 v70, v21 offset:2176                           // 000000004C60: D86C0880 46000015
	ds_read_b32 v71, v21 offset:2240                           // 000000004C68: D86C08C0 47000015
	ds_read_b32 v72, v21 offset:4352                           // 000000004C70: D86C1100 48000015
	ds_read_b32 v73, v21 offset:4416                           // 000000004C78: D86C1140 49000015
	ds_read_b32 v74, v21 offset:6528                           // 000000004C80: D86C1980 4A000015
	ds_read_b32 v75, v21 offset:6592                           // 000000004C88: D86C19C0 4B000015
	ds_read_b32 v76, v21 offset:8704                           // 000000004C90: D86C2200 4C000015
	ds_read_b32 v77, v21 offset:8768                           // 000000004C98: D86C2240 4D000015
	ds_read_b32 v78, v21 offset:10880                          // 000000004CA0: D86C2A80 4E000015
	ds_read_b32 v79, v21 offset:10944                          // 000000004CA8: D86C2AC0 4F000015
	s_waitcnt lgkmcnt(0)                                       // 000000004CB0: BF8CC07F
	s_mov_b32 s36, -1                                          // 000000004CB4: BEA400C1
	s_mov_b32 s37, -1                                          // 000000004CB8: BEA500C1
	v_mov_b32_e32 v7, 0                                        // 000000004CBC: 7E0E0280
	s_or_b32 s9, s9, 0x40000                                   // 000000004CC0: 8709FF09 00040000
	s_mov_b64 exec, s[36:37]                                   // 000000004CC8: BEFE0124
	v_mov_b32_e32 v6, v52                                      // 000000004CCC: 7E0C0334
	s_mov_b64 s[60:61], 0                                      // 000000004CD0: BEBC0180
	v_readlane_b32 s82, v3, 0                                  // 000000004CD4: D2890052 00010103
	s_and_b32 s82, s82, 0xffffff                               // 000000004CDC: 8652FF52 00FFFFFF
	s_cmp_lt_u32 s82, s66                                      // 000000004CE4: BF0A4252
	s_cselect_b32 s20, s36, s60                                // 000000004CE8: 85143C24
	v_readlane_b32 s82, v3, 1                                  // 000000004CEC: D2890052 00010303
	s_and_b32 s82, s82, 0xffffff                               // 000000004CF4: 8652FF52 00FFFFFF
	s_cmp_lt_u32 s82, s66                                      // 000000004CFC: BF0A4252
	s_cselect_b32 s21, s36, s60                                // 000000004D00: 85153C24
	s_mov_b64 exec, s[20:21]                                   // 000000004D04: BEFE0114
	buffer_store_dword v68, v6, s[8:11], 0 offen               // 000000004D08: E0701000 80024406
	s_mov_b64 exec, s[36:37]                                   // 000000004D10: BEFE0124
	v_mov_b32_e32 v6, v53                                      // 000000004D14: 7E0C0335
	s_mov_b64 s[60:61], 0                                      // 000000004D18: BEBC0180
	v_readlane_b32 s82, v3, 2                                  // 000000004D1C: D2890052 00010503
	s_and_b32 s82, s82, 0xffffff                               // 000000004D24: 8652FF52 00FFFFFF
	s_cmp_lt_u32 s82, s66                                      // 000000004D2C: BF0A4252
	s_cselect_b32 s20, s36, s60                                // 000000004D30: 85143C24
	v_readlane_b32 s82, v3, 3                                  // 000000004D34: D2890052 00010703
	s_and_b32 s82, s82, 0xffffff                               // 000000004D3C: 8652FF52 00FFFFFF
	s_cmp_lt_u32 s82, s66                                      // 000000004D44: BF0A4252
	s_cselect_b32 s21, s36, s60                                // 000000004D48: 85153C24
	s_mov_b64 exec, s[20:21]                                   // 000000004D4C: BEFE0114
	buffer_store_dword v69, v6, s[8:11], 0 offen               // 000000004D50: E0701000 80024506
	s_mov_b64 exec, s[36:37]                                   // 000000004D58: BEFE0124
	v_mov_b32_e32 v6, v54                                      // 000000004D5C: 7E0C0336
	s_mov_b64 s[60:61], 0                                      // 000000004D60: BEBC0180
	v_readlane_b32 s82, v3, 4                                  // 000000004D64: D2890052 00010903
	s_and_b32 s82, s82, 0xffffff                               // 000000004D6C: 8652FF52 00FFFFFF
	s_cmp_lt_u32 s82, s66                                      // 000000004D74: BF0A4252
	s_cselect_b32 s20, s36, s60                                // 000000004D78: 85143C24
	v_readlane_b32 s82, v3, 5                                  // 000000004D7C: D2890052 00010B03
	s_and_b32 s82, s82, 0xffffff                               // 000000004D84: 8652FF52 00FFFFFF
	s_cmp_lt_u32 s82, s66                                      // 000000004D8C: BF0A4252
	s_cselect_b32 s21, s36, s60                                // 000000004D90: 85153C24
	s_mov_b64 exec, s[20:21]                                   // 000000004D94: BEFE0114
	buffer_store_dword v70, v6, s[8:11], 0 offen               // 000000004D98: E0701000 80024606
	s_mov_b64 exec, s[36:37]                                   // 000000004DA0: BEFE0124
	v_mov_b32_e32 v6, v55                                      // 000000004DA4: 7E0C0337
	s_mov_b64 s[60:61], 0                                      // 000000004DA8: BEBC0180
	v_readlane_b32 s82, v3, 6                                  // 000000004DAC: D2890052 00010D03
	s_and_b32 s82, s82, 0xffffff                               // 000000004DB4: 8652FF52 00FFFFFF
	s_cmp_lt_u32 s82, s66                                      // 000000004DBC: BF0A4252
	s_cselect_b32 s20, s36, s60                                // 000000004DC0: 85143C24
	v_readlane_b32 s82, v3, 7                                  // 000000004DC4: D2890052 00010F03
	s_and_b32 s82, s82, 0xffffff                               // 000000004DCC: 8652FF52 00FFFFFF
	s_cmp_lt_u32 s82, s66                                      // 000000004DD4: BF0A4252
	s_cselect_b32 s21, s36, s60                                // 000000004DD8: 85153C24
	s_mov_b64 exec, s[20:21]                                   // 000000004DDC: BEFE0114
	buffer_store_dword v71, v6, s[8:11], 0 offen               // 000000004DE0: E0701000 80024706
	s_mov_b64 exec, s[36:37]                                   // 000000004DE8: BEFE0124
	v_mov_b32_e32 v6, v56                                      // 000000004DEC: 7E0C0338
	s_mov_b64 s[60:61], 0                                      // 000000004DF0: BEBC0180
	v_readlane_b32 s82, v3, 8                                  // 000000004DF4: D2890052 00011103
	s_and_b32 s82, s82, 0xffffff                               // 000000004DFC: 8652FF52 00FFFFFF
	s_cmp_lt_u32 s82, s66                                      // 000000004E04: BF0A4252
	s_cselect_b32 s20, s36, s60                                // 000000004E08: 85143C24
	v_readlane_b32 s82, v3, 9                                  // 000000004E0C: D2890052 00011303
	s_and_b32 s82, s82, 0xffffff                               // 000000004E14: 8652FF52 00FFFFFF
	s_cmp_lt_u32 s82, s66                                      // 000000004E1C: BF0A4252
	s_cselect_b32 s21, s36, s60                                // 000000004E20: 85153C24
	s_mov_b64 exec, s[20:21]                                   // 000000004E24: BEFE0114
	buffer_store_dword v72, v6, s[8:11], 0 offen               // 000000004E28: E0701000 80024806
	s_mov_b64 exec, s[36:37]                                   // 000000004E30: BEFE0124
	v_mov_b32_e32 v6, v57                                      // 000000004E34: 7E0C0339
	s_mov_b64 s[60:61], 0                                      // 000000004E38: BEBC0180
	v_readlane_b32 s82, v3, 10                                 // 000000004E3C: D2890052 00011503
	s_and_b32 s82, s82, 0xffffff                               // 000000004E44: 8652FF52 00FFFFFF
	s_cmp_lt_u32 s82, s66                                      // 000000004E4C: BF0A4252
	s_cselect_b32 s20, s36, s60                                // 000000004E50: 85143C24
	v_readlane_b32 s82, v3, 11                                 // 000000004E54: D2890052 00011703
	s_and_b32 s82, s82, 0xffffff                               // 000000004E5C: 8652FF52 00FFFFFF
	s_cmp_lt_u32 s82, s66                                      // 000000004E64: BF0A4252
	s_cselect_b32 s21, s36, s60                                // 000000004E68: 85153C24
	s_mov_b64 exec, s[20:21]                                   // 000000004E6C: BEFE0114
	buffer_store_dword v73, v6, s[8:11], 0 offen               // 000000004E70: E0701000 80024906
	s_mov_b64 exec, s[36:37]                                   // 000000004E78: BEFE0124
	v_mov_b32_e32 v6, v58                                      // 000000004E7C: 7E0C033A
	s_mov_b64 s[60:61], 0                                      // 000000004E80: BEBC0180
	v_readlane_b32 s82, v3, 12                                 // 000000004E84: D2890052 00011903
	s_and_b32 s82, s82, 0xffffff                               // 000000004E8C: 8652FF52 00FFFFFF
	s_cmp_lt_u32 s82, s66                                      // 000000004E94: BF0A4252
	s_cselect_b32 s20, s36, s60                                // 000000004E98: 85143C24
	v_readlane_b32 s82, v3, 13                                 // 000000004E9C: D2890052 00011B03
	s_and_b32 s82, s82, 0xffffff                               // 000000004EA4: 8652FF52 00FFFFFF
	s_cmp_lt_u32 s82, s66                                      // 000000004EAC: BF0A4252
	s_cselect_b32 s21, s36, s60                                // 000000004EB0: 85153C24
	s_mov_b64 exec, s[20:21]                                   // 000000004EB4: BEFE0114
	buffer_store_dword v74, v6, s[8:11], 0 offen               // 000000004EB8: E0701000 80024A06
	s_mov_b64 exec, s[36:37]                                   // 000000004EC0: BEFE0124
	v_mov_b32_e32 v6, v59                                      // 000000004EC4: 7E0C033B
	s_mov_b64 s[60:61], 0                                      // 000000004EC8: BEBC0180
	v_readlane_b32 s82, v3, 14                                 // 000000004ECC: D2890052 00011D03
	s_and_b32 s82, s82, 0xffffff                               // 000000004ED4: 8652FF52 00FFFFFF
	s_cmp_lt_u32 s82, s66                                      // 000000004EDC: BF0A4252
	s_cselect_b32 s20, s36, s60                                // 000000004EE0: 85143C24
	v_readlane_b32 s82, v3, 15                                 // 000000004EE4: D2890052 00011F03
	s_and_b32 s82, s82, 0xffffff                               // 000000004EEC: 8652FF52 00FFFFFF
	s_cmp_lt_u32 s82, s66                                      // 000000004EF4: BF0A4252
	s_cselect_b32 s21, s36, s60                                // 000000004EF8: 85153C24
	s_mov_b64 exec, s[20:21]                                   // 000000004EFC: BEFE0114
	buffer_store_dword v75, v6, s[8:11], 0 offen               // 000000004F00: E0701000 80024B06
	s_mov_b64 exec, s[36:37]                                   // 000000004F08: BEFE0124
	v_mov_b32_e32 v6, v60                                      // 000000004F0C: 7E0C033C
	s_mov_b64 s[60:61], 0                                      // 000000004F10: BEBC0180
	v_readlane_b32 s82, v3, 16                                 // 000000004F14: D2890052 00012103
	s_and_b32 s82, s82, 0xffffff                               // 000000004F1C: 8652FF52 00FFFFFF
	s_cmp_lt_u32 s82, s66                                      // 000000004F24: BF0A4252
	s_cselect_b32 s20, s36, s60                                // 000000004F28: 85143C24
	v_readlane_b32 s82, v3, 17                                 // 000000004F2C: D2890052 00012303
	s_and_b32 s82, s82, 0xffffff                               // 000000004F34: 8652FF52 00FFFFFF
	s_cmp_lt_u32 s82, s66                                      // 000000004F3C: BF0A4252
	s_cselect_b32 s21, s36, s60                                // 000000004F40: 85153C24
	s_mov_b64 exec, s[20:21]                                   // 000000004F44: BEFE0114
	buffer_store_dword v76, v6, s[8:11], 0 offen               // 000000004F48: E0701000 80024C06
	s_mov_b64 exec, s[36:37]                                   // 000000004F50: BEFE0124
	v_mov_b32_e32 v6, v61                                      // 000000004F54: 7E0C033D
	s_mov_b64 s[60:61], 0                                      // 000000004F58: BEBC0180
	v_readlane_b32 s82, v3, 18                                 // 000000004F5C: D2890052 00012503
	s_and_b32 s82, s82, 0xffffff                               // 000000004F64: 8652FF52 00FFFFFF
	s_cmp_lt_u32 s82, s66                                      // 000000004F6C: BF0A4252
	s_cselect_b32 s20, s36, s60                                // 000000004F70: 85143C24
	v_readlane_b32 s82, v3, 19                                 // 000000004F74: D2890052 00012703
	s_and_b32 s82, s82, 0xffffff                               // 000000004F7C: 8652FF52 00FFFFFF
	s_cmp_lt_u32 s82, s66                                      // 000000004F84: BF0A4252
	s_cselect_b32 s21, s36, s60                                // 000000004F88: 85153C24
	s_mov_b64 exec, s[20:21]                                   // 000000004F8C: BEFE0114
	buffer_store_dword v77, v6, s[8:11], 0 offen               // 000000004F90: E0701000 80024D06
	s_mov_b64 exec, s[36:37]                                   // 000000004F98: BEFE0124
	v_mov_b32_e32 v6, v62                                      // 000000004F9C: 7E0C033E
	s_mov_b64 s[60:61], 0                                      // 000000004FA0: BEBC0180
	v_readlane_b32 s82, v3, 20                                 // 000000004FA4: D2890052 00012903
	s_and_b32 s82, s82, 0xffffff                               // 000000004FAC: 8652FF52 00FFFFFF
	s_cmp_lt_u32 s82, s66                                      // 000000004FB4: BF0A4252
	s_cselect_b32 s20, s36, s60                                // 000000004FB8: 85143C24
	v_readlane_b32 s82, v3, 21                                 // 000000004FBC: D2890052 00012B03
	s_and_b32 s82, s82, 0xffffff                               // 000000004FC4: 8652FF52 00FFFFFF
	s_cmp_lt_u32 s82, s66                                      // 000000004FCC: BF0A4252
	s_cselect_b32 s21, s36, s60                                // 000000004FD0: 85153C24
	s_mov_b64 exec, s[20:21]                                   // 000000004FD4: BEFE0114
	buffer_store_dword v78, v6, s[8:11], 0 offen               // 000000004FD8: E0701000 80024E06
	s_mov_b64 exec, s[36:37]                                   // 000000004FE0: BEFE0124
	v_mov_b32_e32 v6, v63                                      // 000000004FE4: 7E0C033F
	s_mov_b64 s[60:61], 0                                      // 000000004FE8: BEBC0180
	v_readlane_b32 s82, v3, 22                                 // 000000004FEC: D2890052 00012D03
	s_and_b32 s82, s82, 0xffffff                               // 000000004FF4: 8652FF52 00FFFFFF
	s_cmp_lt_u32 s82, s66                                      // 000000004FFC: BF0A4252
	s_cselect_b32 s20, s36, s60                                // 000000005000: 85143C24
	v_readlane_b32 s82, v3, 23                                 // 000000005004: D2890052 00012F03
	s_and_b32 s82, s82, 0xffffff                               // 00000000500C: 8652FF52 00FFFFFF
	s_cmp_lt_u32 s82, s66                                      // 000000005014: BF0A4252
	s_cselect_b32 s21, s36, s60                                // 000000005018: 85153C24
	s_mov_b64 exec, s[20:21]                                   // 00000000501C: BEFE0114
	buffer_store_dword v79, v6, s[8:11], 0 offen               // 000000005020: E0701000 80024F06
	s_mov_b64 exec, s[36:37]                                   // 000000005028: BEFE0124
	s_branch label_1A83                                        // 00000000502C: BF8210F4

0000000000005030 <label_098C>:
	ds_write_b64 v20, v[68:69]                                 // 000000005030: D89A0000 00004414
	ds_write_b64 v20, v[72:73] offset:2176                     // 000000005038: D89A0880 00004814
	ds_write_b64 v20, v[76:77] offset:4352                     // 000000005040: D89A1100 00004C14
	ds_write_b64 v20, v[80:81] offset:6528                     // 000000005048: D89A1980 00005014
	ds_write_b64 v20, v[84:85] offset:8704                     // 000000005050: D89A2200 00005414
	ds_write_b64 v20, v[88:89] offset:10880                    // 000000005058: D89A2A80 00005814
	v_lshrrev_b32_e32 v4, 5, v0                                // 000000005060: 20080085
	v_xor_b32_e32 v5, 1, v4                                    // 000000005064: 2A0A0881
	s_mul_i32 s60, s65, 2                                      // 000000005068: 923C8241
	s_cmp_eq_u32 s88, 0                                        // 00000000506C: BF068058
	s_cselect_b32 s61, 1, 4                                    // 000000005070: 853D8481
	s_mul_i32 s60, s61, s60                                    // 000000005074: 923C3C3D
	v_readlane_b32 s82, v3, 0                                  // 000000005078: D2890052 00010103
	s_lshr_b32 s61, s82, 24                                    // 000000005080: 8F3D9852
	s_and_b32 s82, s82, 0xffffff                               // 000000005084: 8652FF52 00FFFFFF
	s_mul_i32 s82, s82, s71                                    // 00000000508C: 92524752
	s_mul_i32 s61, s60, s61                                    // 000000005090: 923D3D3C
	s_add_u32 s82, s82, s61                                    // 000000005094: 80523D52
	v_mul_lo_u32 v6, v5, s82                                   // 000000005098: D2850006 0000A505
	v_readlane_b32 s82, v3, 1                                  // 0000000050A0: D2890052 00010303
	s_lshr_b32 s61, s82, 24                                    // 0000000050A8: 8F3D9852
	s_and_b32 s82, s82, 0xffffff                               // 0000000050AC: 8652FF52 00FFFFFF
	s_mul_i32 s82, s82, s71                                    // 0000000050B4: 92524752
	s_mul_i32 s61, s60, s61                                    // 0000000050B8: 923D3D3C
	s_add_u32 s82, s82, s61                                    // 0000000050BC: 80523D52
	v_mul_lo_u32 v7, v4, s82                                   // 0000000050C0: D2850007 0000A504
	v_add_u32_e32 v52, v6, v7                                  // 0000000050C8: 68680F06
	v_readlane_b32 s82, v3, 2                                  // 0000000050CC: D2890052 00010503
	s_lshr_b32 s61, s82, 24                                    // 0000000050D4: 8F3D9852
	s_and_b32 s82, s82, 0xffffff                               // 0000000050D8: 8652FF52 00FFFFFF
	s_mul_i32 s82, s82, s71                                    // 0000000050E0: 92524752
	s_mul_i32 s61, s60, s61                                    // 0000000050E4: 923D3D3C
	s_add_u32 s82, s82, s61                                    // 0000000050E8: 80523D52
	v_mul_lo_u32 v6, v5, s82                                   // 0000000050EC: D2850006 0000A505
	v_readlane_b32 s82, v3, 3                                  // 0000000050F4: D2890052 00010703
	s_lshr_b32 s61, s82, 24                                    // 0000000050FC: 8F3D9852
	s_and_b32 s82, s82, 0xffffff                               // 000000005100: 8652FF52 00FFFFFF
	s_mul_i32 s82, s82, s71                                    // 000000005108: 92524752
	s_mul_i32 s61, s60, s61                                    // 00000000510C: 923D3D3C
	s_add_u32 s82, s82, s61                                    // 000000005110: 80523D52
	v_mul_lo_u32 v7, v4, s82                                   // 000000005114: D2850007 0000A504
	v_add_u32_e32 v53, v6, v7                                  // 00000000511C: 686A0F06
	v_readlane_b32 s82, v3, 4                                  // 000000005120: D2890052 00010903
	s_lshr_b32 s61, s82, 24                                    // 000000005128: 8F3D9852
	s_and_b32 s82, s82, 0xffffff                               // 00000000512C: 8652FF52 00FFFFFF
	s_mul_i32 s82, s82, s71                                    // 000000005134: 92524752
	s_mul_i32 s61, s60, s61                                    // 000000005138: 923D3D3C
	s_add_u32 s82, s82, s61                                    // 00000000513C: 80523D52
	v_mul_lo_u32 v6, v5, s82                                   // 000000005140: D2850006 0000A505
	v_readlane_b32 s82, v3, 5                                  // 000000005148: D2890052 00010B03
	s_lshr_b32 s61, s82, 24                                    // 000000005150: 8F3D9852
	s_and_b32 s82, s82, 0xffffff                               // 000000005154: 8652FF52 00FFFFFF
	s_mul_i32 s82, s82, s71                                    // 00000000515C: 92524752
	s_mul_i32 s61, s60, s61                                    // 000000005160: 923D3D3C
	s_add_u32 s82, s82, s61                                    // 000000005164: 80523D52
	v_mul_lo_u32 v7, v4, s82                                   // 000000005168: D2850007 0000A504
	v_add_u32_e32 v54, v6, v7                                  // 000000005170: 686C0F06
	v_readlane_b32 s82, v3, 6                                  // 000000005174: D2890052 00010D03
	s_lshr_b32 s61, s82, 24                                    // 00000000517C: 8F3D9852
	s_and_b32 s82, s82, 0xffffff                               // 000000005180: 8652FF52 00FFFFFF
	s_mul_i32 s82, s82, s71                                    // 000000005188: 92524752
	s_mul_i32 s61, s60, s61                                    // 00000000518C: 923D3D3C
	s_add_u32 s82, s82, s61                                    // 000000005190: 80523D52
	v_mul_lo_u32 v6, v5, s82                                   // 000000005194: D2850006 0000A505
	v_readlane_b32 s82, v3, 7                                  // 00000000519C: D2890052 00010F03
	s_lshr_b32 s61, s82, 24                                    // 0000000051A4: 8F3D9852
	s_and_b32 s82, s82, 0xffffff                               // 0000000051A8: 8652FF52 00FFFFFF
	s_mul_i32 s82, s82, s71                                    // 0000000051B0: 92524752
	s_mul_i32 s61, s60, s61                                    // 0000000051B4: 923D3D3C
	s_add_u32 s82, s82, s61                                    // 0000000051B8: 80523D52
	v_mul_lo_u32 v7, v4, s82                                   // 0000000051BC: D2850007 0000A504
	v_add_u32_e32 v55, v6, v7                                  // 0000000051C4: 686E0F06
	v_readlane_b32 s82, v3, 8                                  // 0000000051C8: D2890052 00011103
	s_lshr_b32 s61, s82, 24                                    // 0000000051D0: 8F3D9852
	s_and_b32 s82, s82, 0xffffff                               // 0000000051D4: 8652FF52 00FFFFFF
	s_mul_i32 s82, s82, s71                                    // 0000000051DC: 92524752
	s_mul_i32 s61, s60, s61                                    // 0000000051E0: 923D3D3C
	s_add_u32 s82, s82, s61                                    // 0000000051E4: 80523D52
	v_mul_lo_u32 v6, v5, s82                                   // 0000000051E8: D2850006 0000A505
	v_readlane_b32 s82, v3, 9                                  // 0000000051F0: D2890052 00011303
	s_lshr_b32 s61, s82, 24                                    // 0000000051F8: 8F3D9852
	s_and_b32 s82, s82, 0xffffff                               // 0000000051FC: 8652FF52 00FFFFFF
	s_mul_i32 s82, s82, s71                                    // 000000005204: 92524752
	s_mul_i32 s61, s60, s61                                    // 000000005208: 923D3D3C
	s_add_u32 s82, s82, s61                                    // 00000000520C: 80523D52
	v_mul_lo_u32 v7, v4, s82                                   // 000000005210: D2850007 0000A504
	v_add_u32_e32 v56, v6, v7                                  // 000000005218: 68700F06
	v_readlane_b32 s82, v3, 10                                 // 00000000521C: D2890052 00011503
	s_lshr_b32 s61, s82, 24                                    // 000000005224: 8F3D9852
	s_and_b32 s82, s82, 0xffffff                               // 000000005228: 8652FF52 00FFFFFF
	s_mul_i32 s82, s82, s71                                    // 000000005230: 92524752
	s_mul_i32 s61, s60, s61                                    // 000000005234: 923D3D3C
	s_add_u32 s82, s82, s61                                    // 000000005238: 80523D52
	v_mul_lo_u32 v6, v5, s82                                   // 00000000523C: D2850006 0000A505
	v_readlane_b32 s82, v3, 11                                 // 000000005244: D2890052 00011703
	s_lshr_b32 s61, s82, 24                                    // 00000000524C: 8F3D9852
	s_and_b32 s82, s82, 0xffffff                               // 000000005250: 8652FF52 00FFFFFF
	s_mul_i32 s82, s82, s71                                    // 000000005258: 92524752
	s_mul_i32 s61, s60, s61                                    // 00000000525C: 923D3D3C
	s_add_u32 s82, s82, s61                                    // 000000005260: 80523D52
	v_mul_lo_u32 v7, v4, s82                                   // 000000005264: D2850007 0000A504
	v_add_u32_e32 v57, v6, v7                                  // 00000000526C: 68720F06
	v_readlane_b32 s82, v3, 12                                 // 000000005270: D2890052 00011903
	s_lshr_b32 s61, s82, 24                                    // 000000005278: 8F3D9852
	s_and_b32 s82, s82, 0xffffff                               // 00000000527C: 8652FF52 00FFFFFF
	s_mul_i32 s82, s82, s71                                    // 000000005284: 92524752
	s_mul_i32 s61, s60, s61                                    // 000000005288: 923D3D3C
	s_add_u32 s82, s82, s61                                    // 00000000528C: 80523D52
	v_mul_lo_u32 v6, v5, s82                                   // 000000005290: D2850006 0000A505
	v_readlane_b32 s82, v3, 13                                 // 000000005298: D2890052 00011B03
	s_lshr_b32 s61, s82, 24                                    // 0000000052A0: 8F3D9852
	s_and_b32 s82, s82, 0xffffff                               // 0000000052A4: 8652FF52 00FFFFFF
	s_mul_i32 s82, s82, s71                                    // 0000000052AC: 92524752
	s_mul_i32 s61, s60, s61                                    // 0000000052B0: 923D3D3C
	s_add_u32 s82, s82, s61                                    // 0000000052B4: 80523D52
	v_mul_lo_u32 v7, v4, s82                                   // 0000000052B8: D2850007 0000A504
	v_add_u32_e32 v58, v6, v7                                  // 0000000052C0: 68740F06
	v_readlane_b32 s82, v3, 14                                 // 0000000052C4: D2890052 00011D03
	s_lshr_b32 s61, s82, 24                                    // 0000000052CC: 8F3D9852
	s_and_b32 s82, s82, 0xffffff                               // 0000000052D0: 8652FF52 00FFFFFF
	s_mul_i32 s82, s82, s71                                    // 0000000052D8: 92524752
	s_mul_i32 s61, s60, s61                                    // 0000000052DC: 923D3D3C
	s_add_u32 s82, s82, s61                                    // 0000000052E0: 80523D52
	v_mul_lo_u32 v6, v5, s82                                   // 0000000052E4: D2850006 0000A505
	v_readlane_b32 s82, v3, 15                                 // 0000000052EC: D2890052 00011F03
	s_lshr_b32 s61, s82, 24                                    // 0000000052F4: 8F3D9852
	s_and_b32 s82, s82, 0xffffff                               // 0000000052F8: 8652FF52 00FFFFFF
	s_mul_i32 s82, s82, s71                                    // 000000005300: 92524752
	s_mul_i32 s61, s60, s61                                    // 000000005304: 923D3D3C
	s_add_u32 s82, s82, s61                                    // 000000005308: 80523D52
	v_mul_lo_u32 v7, v4, s82                                   // 00000000530C: D2850007 0000A504
	v_add_u32_e32 v59, v6, v7                                  // 000000005314: 68760F06
	v_readlane_b32 s82, v3, 16                                 // 000000005318: D2890052 00012103
	s_lshr_b32 s61, s82, 24                                    // 000000005320: 8F3D9852
	s_and_b32 s82, s82, 0xffffff                               // 000000005324: 8652FF52 00FFFFFF
	s_mul_i32 s82, s82, s71                                    // 00000000532C: 92524752
	s_mul_i32 s61, s60, s61                                    // 000000005330: 923D3D3C
	s_add_u32 s82, s82, s61                                    // 000000005334: 80523D52
	v_mul_lo_u32 v6, v5, s82                                   // 000000005338: D2850006 0000A505
	v_readlane_b32 s82, v3, 17                                 // 000000005340: D2890052 00012303
	s_lshr_b32 s61, s82, 24                                    // 000000005348: 8F3D9852
	s_and_b32 s82, s82, 0xffffff                               // 00000000534C: 8652FF52 00FFFFFF
	s_mul_i32 s82, s82, s71                                    // 000000005354: 92524752
	s_mul_i32 s61, s60, s61                                    // 000000005358: 923D3D3C
	s_add_u32 s82, s82, s61                                    // 00000000535C: 80523D52
	v_mul_lo_u32 v7, v4, s82                                   // 000000005360: D2850007 0000A504
	v_add_u32_e32 v60, v6, v7                                  // 000000005368: 68780F06
	v_readlane_b32 s82, v3, 18                                 // 00000000536C: D2890052 00012503
	s_lshr_b32 s61, s82, 24                                    // 000000005374: 8F3D9852
	s_and_b32 s82, s82, 0xffffff                               // 000000005378: 8652FF52 00FFFFFF
	s_mul_i32 s82, s82, s71                                    // 000000005380: 92524752
	s_mul_i32 s61, s60, s61                                    // 000000005384: 923D3D3C
	s_add_u32 s82, s82, s61                                    // 000000005388: 80523D52
	v_mul_lo_u32 v6, v5, s82                                   // 00000000538C: D2850006 0000A505
	v_readlane_b32 s82, v3, 19                                 // 000000005394: D2890052 00012703
	s_lshr_b32 s61, s82, 24                                    // 00000000539C: 8F3D9852
	s_and_b32 s82, s82, 0xffffff                               // 0000000053A0: 8652FF52 00FFFFFF
	s_mul_i32 s82, s82, s71                                    // 0000000053A8: 92524752
	s_mul_i32 s61, s60, s61                                    // 0000000053AC: 923D3D3C
	s_add_u32 s82, s82, s61                                    // 0000000053B0: 80523D52
	v_mul_lo_u32 v7, v4, s82                                   // 0000000053B4: D2850007 0000A504
	v_add_u32_e32 v61, v6, v7                                  // 0000000053BC: 687A0F06
	v_readlane_b32 s82, v3, 20                                 // 0000000053C0: D2890052 00012903
	s_lshr_b32 s61, s82, 24                                    // 0000000053C8: 8F3D9852
	s_and_b32 s82, s82, 0xffffff                               // 0000000053CC: 8652FF52 00FFFFFF
	s_mul_i32 s82, s82, s71                                    // 0000000053D4: 92524752
	s_mul_i32 s61, s60, s61                                    // 0000000053D8: 923D3D3C
	s_add_u32 s82, s82, s61                                    // 0000000053DC: 80523D52
	v_mul_lo_u32 v6, v5, s82                                   // 0000000053E0: D2850006 0000A505
	v_readlane_b32 s82, v3, 21                                 // 0000000053E8: D2890052 00012B03
	s_lshr_b32 s61, s82, 24                                    // 0000000053F0: 8F3D9852
	s_and_b32 s82, s82, 0xffffff                               // 0000000053F4: 8652FF52 00FFFFFF
	s_mul_i32 s82, s82, s71                                    // 0000000053FC: 92524752
	s_mul_i32 s61, s60, s61                                    // 000000005400: 923D3D3C
	s_add_u32 s82, s82, s61                                    // 000000005404: 80523D52
	v_mul_lo_u32 v7, v4, s82                                   // 000000005408: D2850007 0000A504
	v_add_u32_e32 v62, v6, v7                                  // 000000005410: 687C0F06
	v_readlane_b32 s82, v3, 22                                 // 000000005414: D2890052 00012D03
	s_lshr_b32 s61, s82, 24                                    // 00000000541C: 8F3D9852
	s_and_b32 s82, s82, 0xffffff                               // 000000005420: 8652FF52 00FFFFFF
	s_mul_i32 s82, s82, s71                                    // 000000005428: 92524752
	s_mul_i32 s61, s60, s61                                    // 00000000542C: 923D3D3C
	s_add_u32 s82, s82, s61                                    // 000000005430: 80523D52
	v_mul_lo_u32 v6, v5, s82                                   // 000000005434: D2850006 0000A505
	v_readlane_b32 s82, v3, 23                                 // 00000000543C: D2890052 00012F03
	s_lshr_b32 s61, s82, 24                                    // 000000005444: 8F3D9852
	s_and_b32 s82, s82, 0xffffff                               // 000000005448: 8652FF52 00FFFFFF
	s_mul_i32 s82, s82, s71                                    // 000000005450: 92524752
	s_mul_i32 s61, s60, s61                                    // 000000005454: 923D3D3C
	s_add_u32 s82, s82, s61                                    // 000000005458: 80523D52
	v_mul_lo_u32 v7, v4, s82                                   // 00000000545C: D2850007 0000A504
	v_add_u32_e32 v63, v6, v7                                  // 000000005464: 687E0F06
	v_and_b32_e32 v4, 31, v0                                   // 000000005468: 2608009F
	v_lshrrev_b32_e32 v4, 1, v4                                // 00000000546C: 20080881
	s_cmp_eq_u32 s88, 0                                        // 000000005470: BF068058
	s_cselect_b32 s61, 2, 4                                    // 000000005474: 853D8482
	v_mul_lo_u32 v4, v4, s61                                   // 000000005478: D2850004 00007B04
	v_and_b32_e64 v5, v0, 1                                    // 000000005480: D1130005 00010300
	v_add_u32_e32 v4, v4, v5                                   // 000000005488: 68080B04
	v_lshlrev_b32_e32 v4, 2, v4                                // 00000000548C: 24080882
	v_add_u32_e32 v52, v52, v4                                 // 000000005490: 68680934
	v_add_u32_e32 v53, v53, v4                                 // 000000005494: 686A0935
	v_add_u32_e32 v54, v54, v4                                 // 000000005498: 686C0936
	v_add_u32_e32 v55, v55, v4                                 // 00000000549C: 686E0937
	v_add_u32_e32 v56, v56, v4                                 // 0000000054A0: 68700938
	v_add_u32_e32 v57, v57, v4                                 // 0000000054A4: 68720939
	v_add_u32_e32 v58, v58, v4                                 // 0000000054A8: 6874093A
	v_add_u32_e32 v59, v59, v4                                 // 0000000054AC: 6876093B
	v_add_u32_e32 v60, v60, v4                                 // 0000000054B0: 6878093C
	v_add_u32_e32 v61, v61, v4                                 // 0000000054B4: 687A093D
	v_add_u32_e32 v62, v62, v4                                 // 0000000054B8: 687C093E
	v_add_u32_e32 v63, v63, v4                                 // 0000000054BC: 687E093F
	s_waitcnt lgkmcnt(0)                                       // 0000000054C0: BF8CC07F
	s_barrier                                                  // 0000000054C4: BF8A0000
	ds_read_b32 v68, v21                                       // 0000000054C8: D86C0000 44000015
	ds_read_b32 v69, v21 offset:64                             // 0000000054D0: D86C0040 45000015
	ds_read_b32 v72, v21 offset:2176                           // 0000000054D8: D86C0880 48000015
	ds_read_b32 v73, v21 offset:2240                           // 0000000054E0: D86C08C0 49000015
	ds_read_b32 v76, v21 offset:4352                           // 0000000054E8: D86C1100 4C000015
	ds_read_b32 v77, v21 offset:4416                           // 0000000054F0: D86C1140 4D000015
	ds_read_b32 v80, v21 offset:6528                           // 0000000054F8: D86C1980 50000015
	ds_read_b32 v81, v21 offset:6592                           // 000000005500: D86C19C0 51000015
	ds_read_b32 v84, v21 offset:8704                           // 000000005508: D86C2200 54000015
	ds_read_b32 v85, v21 offset:8768                           // 000000005510: D86C2240 55000015
	ds_read_b32 v88, v21 offset:10880                          // 000000005518: D86C2A80 58000015
	ds_read_b32 v89, v21 offset:10944                          // 000000005520: D86C2AC0 59000015
	s_waitcnt lgkmcnt(0)                                       // 000000005528: BF8CC07F
	s_mov_b32 s36, -1                                          // 00000000552C: BEA400C1
	s_mov_b32 s37, -1                                          // 000000005530: BEA500C1
	v_mov_b32_e32 v7, 0                                        // 000000005534: 7E0E0280
	s_mov_b64 exec, s[36:37]                                   // 000000005538: BEFE0124
	v_mov_b32_e32 v6, v52                                      // 00000000553C: 7E0C0334
	s_mov_b64 s[60:61], 0                                      // 000000005540: BEBC0180
	v_readlane_b32 s82, v3, 0                                  // 000000005544: D2890052 00010103
	s_and_b32 s82, s82, 0xffffff                               // 00000000554C: 8652FF52 00FFFFFF
	s_cmp_lt_u32 s82, s66                                      // 000000005554: BF0A4252
	s_cselect_b32 s20, s36, s60                                // 000000005558: 85143C24
	v_readlane_b32 s82, v3, 1                                  // 00000000555C: D2890052 00010303
	s_and_b32 s82, s82, 0xffffff                               // 000000005564: 8652FF52 00FFFFFF
	s_cmp_lt_u32 s82, s66                                      // 00000000556C: BF0A4252
	s_cselect_b32 s21, s36, s60                                // 000000005570: 85153C24
	s_mov_b64 exec, s[20:21]                                   // 000000005574: BEFE0114
	global_atomic_add_f32 v6, v68, s[8:9]                      // 000000005578: DD348000 00084406
	s_mov_b64 exec, s[36:37]                                   // 000000005580: BEFE0124
	v_mov_b32_e32 v6, v53                                      // 000000005584: 7E0C0335
	s_mov_b64 s[60:61], 0                                      // 000000005588: BEBC0180
	v_readlane_b32 s82, v3, 2                                  // 00000000558C: D2890052 00010503
	s_and_b32 s82, s82, 0xffffff                               // 000000005594: 8652FF52 00FFFFFF
	s_cmp_lt_u32 s82, s66                                      // 00000000559C: BF0A4252
	s_cselect_b32 s20, s36, s60                                // 0000000055A0: 85143C24
	v_readlane_b32 s82, v3, 3                                  // 0000000055A4: D2890052 00010703
	s_and_b32 s82, s82, 0xffffff                               // 0000000055AC: 8652FF52 00FFFFFF
	s_cmp_lt_u32 s82, s66                                      // 0000000055B4: BF0A4252
	s_cselect_b32 s21, s36, s60                                // 0000000055B8: 85153C24
	s_mov_b64 exec, s[20:21]                                   // 0000000055BC: BEFE0114
	global_atomic_add_f32 v6, v69, s[8:9]                      // 0000000055C0: DD348000 00084506
	s_mov_b64 exec, s[36:37]                                   // 0000000055C8: BEFE0124
	v_mov_b32_e32 v6, v54                                      // 0000000055CC: 7E0C0336
	s_mov_b64 s[60:61], 0                                      // 0000000055D0: BEBC0180
	v_readlane_b32 s82, v3, 4                                  // 0000000055D4: D2890052 00010903
	s_and_b32 s82, s82, 0xffffff                               // 0000000055DC: 8652FF52 00FFFFFF
	s_cmp_lt_u32 s82, s66                                      // 0000000055E4: BF0A4252
	s_cselect_b32 s20, s36, s60                                // 0000000055E8: 85143C24
	v_readlane_b32 s82, v3, 5                                  // 0000000055EC: D2890052 00010B03
	s_and_b32 s82, s82, 0xffffff                               // 0000000055F4: 8652FF52 00FFFFFF
	s_cmp_lt_u32 s82, s66                                      // 0000000055FC: BF0A4252
	s_cselect_b32 s21, s36, s60                                // 000000005600: 85153C24
	s_mov_b64 exec, s[20:21]                                   // 000000005604: BEFE0114
	global_atomic_add_f32 v6, v72, s[8:9]                      // 000000005608: DD348000 00084806
	s_mov_b64 exec, s[36:37]                                   // 000000005610: BEFE0124
	v_mov_b32_e32 v6, v55                                      // 000000005614: 7E0C0337
	s_mov_b64 s[60:61], 0                                      // 000000005618: BEBC0180
	v_readlane_b32 s82, v3, 6                                  // 00000000561C: D2890052 00010D03
	s_and_b32 s82, s82, 0xffffff                               // 000000005624: 8652FF52 00FFFFFF
	s_cmp_lt_u32 s82, s66                                      // 00000000562C: BF0A4252
	s_cselect_b32 s20, s36, s60                                // 000000005630: 85143C24
	v_readlane_b32 s82, v3, 7                                  // 000000005634: D2890052 00010F03
	s_and_b32 s82, s82, 0xffffff                               // 00000000563C: 8652FF52 00FFFFFF
	s_cmp_lt_u32 s82, s66                                      // 000000005644: BF0A4252
	s_cselect_b32 s21, s36, s60                                // 000000005648: 85153C24
	s_mov_b64 exec, s[20:21]                                   // 00000000564C: BEFE0114
	global_atomic_add_f32 v6, v73, s[8:9]                      // 000000005650: DD348000 00084906
	s_mov_b64 exec, s[36:37]                                   // 000000005658: BEFE0124
	v_mov_b32_e32 v6, v56                                      // 00000000565C: 7E0C0338
	s_mov_b64 s[60:61], 0                                      // 000000005660: BEBC0180
	v_readlane_b32 s82, v3, 8                                  // 000000005664: D2890052 00011103
	s_and_b32 s82, s82, 0xffffff                               // 00000000566C: 8652FF52 00FFFFFF
	s_cmp_lt_u32 s82, s66                                      // 000000005674: BF0A4252
	s_cselect_b32 s20, s36, s60                                // 000000005678: 85143C24
	v_readlane_b32 s82, v3, 9                                  // 00000000567C: D2890052 00011303
	s_and_b32 s82, s82, 0xffffff                               // 000000005684: 8652FF52 00FFFFFF
	s_cmp_lt_u32 s82, s66                                      // 00000000568C: BF0A4252
	s_cselect_b32 s21, s36, s60                                // 000000005690: 85153C24
	s_mov_b64 exec, s[20:21]                                   // 000000005694: BEFE0114
	global_atomic_add_f32 v6, v76, s[8:9]                      // 000000005698: DD348000 00084C06
	s_mov_b64 exec, s[36:37]                                   // 0000000056A0: BEFE0124
	v_mov_b32_e32 v6, v57                                      // 0000000056A4: 7E0C0339
	s_mov_b64 s[60:61], 0                                      // 0000000056A8: BEBC0180
	v_readlane_b32 s82, v3, 10                                 // 0000000056AC: D2890052 00011503
	s_and_b32 s82, s82, 0xffffff                               // 0000000056B4: 8652FF52 00FFFFFF
	s_cmp_lt_u32 s82, s66                                      // 0000000056BC: BF0A4252
	s_cselect_b32 s20, s36, s60                                // 0000000056C0: 85143C24
	v_readlane_b32 s82, v3, 11                                 // 0000000056C4: D2890052 00011703
	s_and_b32 s82, s82, 0xffffff                               // 0000000056CC: 8652FF52 00FFFFFF
	s_cmp_lt_u32 s82, s66                                      // 0000000056D4: BF0A4252
	s_cselect_b32 s21, s36, s60                                // 0000000056D8: 85153C24
	s_mov_b64 exec, s[20:21]                                   // 0000000056DC: BEFE0114
	global_atomic_add_f32 v6, v77, s[8:9]                      // 0000000056E0: DD348000 00084D06
	s_mov_b64 exec, s[36:37]                                   // 0000000056E8: BEFE0124
	v_mov_b32_e32 v6, v58                                      // 0000000056EC: 7E0C033A
	s_mov_b64 s[60:61], 0                                      // 0000000056F0: BEBC0180
	v_readlane_b32 s82, v3, 12                                 // 0000000056F4: D2890052 00011903
	s_and_b32 s82, s82, 0xffffff                               // 0000000056FC: 8652FF52 00FFFFFF
	s_cmp_lt_u32 s82, s66                                      // 000000005704: BF0A4252
	s_cselect_b32 s20, s36, s60                                // 000000005708: 85143C24
	v_readlane_b32 s82, v3, 13                                 // 00000000570C: D2890052 00011B03
	s_and_b32 s82, s82, 0xffffff                               // 000000005714: 8652FF52 00FFFFFF
	s_cmp_lt_u32 s82, s66                                      // 00000000571C: BF0A4252
	s_cselect_b32 s21, s36, s60                                // 000000005720: 85153C24
	s_mov_b64 exec, s[20:21]                                   // 000000005724: BEFE0114
	global_atomic_add_f32 v6, v80, s[8:9]                      // 000000005728: DD348000 00085006
	s_mov_b64 exec, s[36:37]                                   // 000000005730: BEFE0124
	v_mov_b32_e32 v6, v59                                      // 000000005734: 7E0C033B
	s_mov_b64 s[60:61], 0                                      // 000000005738: BEBC0180
	v_readlane_b32 s82, v3, 14                                 // 00000000573C: D2890052 00011D03
	s_and_b32 s82, s82, 0xffffff                               // 000000005744: 8652FF52 00FFFFFF
	s_cmp_lt_u32 s82, s66                                      // 00000000574C: BF0A4252
	s_cselect_b32 s20, s36, s60                                // 000000005750: 85143C24
	v_readlane_b32 s82, v3, 15                                 // 000000005754: D2890052 00011F03
	s_and_b32 s82, s82, 0xffffff                               // 00000000575C: 8652FF52 00FFFFFF
	s_cmp_lt_u32 s82, s66                                      // 000000005764: BF0A4252
	s_cselect_b32 s21, s36, s60                                // 000000005768: 85153C24
	s_mov_b64 exec, s[20:21]                                   // 00000000576C: BEFE0114
	global_atomic_add_f32 v6, v81, s[8:9]                      // 000000005770: DD348000 00085106
	s_mov_b64 exec, s[36:37]                                   // 000000005778: BEFE0124
	v_mov_b32_e32 v6, v60                                      // 00000000577C: 7E0C033C
	s_mov_b64 s[60:61], 0                                      // 000000005780: BEBC0180
	v_readlane_b32 s82, v3, 16                                 // 000000005784: D2890052 00012103
	s_and_b32 s82, s82, 0xffffff                               // 00000000578C: 8652FF52 00FFFFFF
	s_cmp_lt_u32 s82, s66                                      // 000000005794: BF0A4252
	s_cselect_b32 s20, s36, s60                                // 000000005798: 85143C24
	v_readlane_b32 s82, v3, 17                                 // 00000000579C: D2890052 00012303
	s_and_b32 s82, s82, 0xffffff                               // 0000000057A4: 8652FF52 00FFFFFF
	s_cmp_lt_u32 s82, s66                                      // 0000000057AC: BF0A4252
	s_cselect_b32 s21, s36, s60                                // 0000000057B0: 85153C24
	s_mov_b64 exec, s[20:21]                                   // 0000000057B4: BEFE0114
	global_atomic_add_f32 v6, v84, s[8:9]                      // 0000000057B8: DD348000 00085406
	s_mov_b64 exec, s[36:37]                                   // 0000000057C0: BEFE0124
	v_mov_b32_e32 v6, v61                                      // 0000000057C4: 7E0C033D
	s_mov_b64 s[60:61], 0                                      // 0000000057C8: BEBC0180
	v_readlane_b32 s82, v3, 18                                 // 0000000057CC: D2890052 00012503
	s_and_b32 s82, s82, 0xffffff                               // 0000000057D4: 8652FF52 00FFFFFF
	s_cmp_lt_u32 s82, s66                                      // 0000000057DC: BF0A4252
	s_cselect_b32 s20, s36, s60                                // 0000000057E0: 85143C24
	v_readlane_b32 s82, v3, 19                                 // 0000000057E4: D2890052 00012703
	s_and_b32 s82, s82, 0xffffff                               // 0000000057EC: 8652FF52 00FFFFFF
	s_cmp_lt_u32 s82, s66                                      // 0000000057F4: BF0A4252
	s_cselect_b32 s21, s36, s60                                // 0000000057F8: 85153C24
	s_mov_b64 exec, s[20:21]                                   // 0000000057FC: BEFE0114
	global_atomic_add_f32 v6, v85, s[8:9]                      // 000000005800: DD348000 00085506
	s_mov_b64 exec, s[36:37]                                   // 000000005808: BEFE0124
	v_mov_b32_e32 v6, v62                                      // 00000000580C: 7E0C033E
	s_mov_b64 s[60:61], 0                                      // 000000005810: BEBC0180
	v_readlane_b32 s82, v3, 20                                 // 000000005814: D2890052 00012903
	s_and_b32 s82, s82, 0xffffff                               // 00000000581C: 8652FF52 00FFFFFF
	s_cmp_lt_u32 s82, s66                                      // 000000005824: BF0A4252
	s_cselect_b32 s20, s36, s60                                // 000000005828: 85143C24
	v_readlane_b32 s82, v3, 21                                 // 00000000582C: D2890052 00012B03
	s_and_b32 s82, s82, 0xffffff                               // 000000005834: 8652FF52 00FFFFFF
	s_cmp_lt_u32 s82, s66                                      // 00000000583C: BF0A4252
	s_cselect_b32 s21, s36, s60                                // 000000005840: 85153C24
	s_mov_b64 exec, s[20:21]                                   // 000000005844: BEFE0114
	global_atomic_add_f32 v6, v88, s[8:9]                      // 000000005848: DD348000 00085806
	s_mov_b64 exec, s[36:37]                                   // 000000005850: BEFE0124
	v_mov_b32_e32 v6, v63                                      // 000000005854: 7E0C033F
	s_mov_b64 s[60:61], 0                                      // 000000005858: BEBC0180
	v_readlane_b32 s82, v3, 22                                 // 00000000585C: D2890052 00012D03
	s_and_b32 s82, s82, 0xffffff                               // 000000005864: 8652FF52 00FFFFFF
	s_cmp_lt_u32 s82, s66                                      // 00000000586C: BF0A4252
	s_cselect_b32 s20, s36, s60                                // 000000005870: 85143C24
	v_readlane_b32 s82, v3, 23                                 // 000000005874: D2890052 00012F03
	s_and_b32 s82, s82, 0xffffff                               // 00000000587C: 8652FF52 00FFFFFF
	s_cmp_lt_u32 s82, s66                                      // 000000005884: BF0A4252
	s_cselect_b32 s21, s36, s60                                // 000000005888: 85153C24
	s_mov_b64 exec, s[20:21]                                   // 00000000588C: BEFE0114
	global_atomic_add_f32 v6, v89, s[8:9]                      // 000000005890: DD348000 00085906
	s_mov_b64 exec, s[36:37]                                   // 000000005898: BEFE0124
	ds_write_b64 v20, v[70:71]                                 // 00000000589C: D89A0000 00004614
	ds_write_b64 v20, v[74:75] offset:2176                     // 0000000058A4: D89A0880 00004A14
	ds_write_b64 v20, v[78:79] offset:4352                     // 0000000058AC: D89A1100 00004E14
	ds_write_b64 v20, v[82:83] offset:6528                     // 0000000058B4: D89A1980 00005214
	ds_write_b64 v20, v[86:87] offset:8704                     // 0000000058BC: D89A2200 00005614
	ds_write_b64 v20, v[90:91] offset:10880                    // 0000000058C4: D89A2A80 00005A14
	s_waitcnt lgkmcnt(0)                                       // 0000000058CC: BF8CC07F
	s_barrier                                                  // 0000000058D0: BF8A0000
	ds_read_b32 v70, v21                                       // 0000000058D4: D86C0000 46000015
	ds_read_b32 v71, v21 offset:64                             // 0000000058DC: D86C0040 47000015
	ds_read_b32 v74, v21 offset:2176                           // 0000000058E4: D86C0880 4A000015
	ds_read_b32 v75, v21 offset:2240                           // 0000000058EC: D86C08C0 4B000015
	ds_read_b32 v78, v21 offset:4352                           // 0000000058F4: D86C1100 4E000015
	ds_read_b32 v79, v21 offset:4416                           // 0000000058FC: D86C1140 4F000015
	ds_read_b32 v82, v21 offset:6528                           // 000000005904: D86C1980 52000015
	ds_read_b32 v83, v21 offset:6592                           // 00000000590C: D86C19C0 53000015
	ds_read_b32 v86, v21 offset:8704                           // 000000005914: D86C2200 56000015
	ds_read_b32 v87, v21 offset:8768                           // 00000000591C: D86C2240 57000015
	ds_read_b32 v90, v21 offset:10880                          // 000000005924: D86C2A80 5A000015
	ds_read_b32 v91, v21 offset:10944                          // 00000000592C: D86C2AC0 5B000015
	s_waitcnt lgkmcnt(0)                                       // 000000005934: BF8CC07F
	v_mov_b32_e32 v7, 0                                        // 000000005938: 7E0E0280
	s_mov_b64 exec, s[36:37]                                   // 00000000593C: BEFE0124
	v_mov_b32_e32 v6, v52                                      // 000000005940: 7E0C0334
	s_mov_b64 s[60:61], 0                                      // 000000005944: BEBC0180
	v_readlane_b32 s82, v3, 0                                  // 000000005948: D2890052 00010103
	s_and_b32 s82, s82, 0xffffff                               // 000000005950: 8652FF52 00FFFFFF
	s_cmp_lt_u32 s82, s66                                      // 000000005958: BF0A4252
	s_cselect_b32 s20, s36, s60                                // 00000000595C: 85143C24
	v_readlane_b32 s82, v3, 1                                  // 000000005960: D2890052 00010303
	s_and_b32 s82, s82, 0xffffff                               // 000000005968: 8652FF52 00FFFFFF
	s_cmp_lt_u32 s82, s66                                      // 000000005970: BF0A4252
	s_cselect_b32 s21, s36, s60                                // 000000005974: 85153C24
	s_mov_b64 exec, s[20:21]                                   // 000000005978: BEFE0114
	global_atomic_add_f32 v6, v70, s[8:9] offset:8             // 00000000597C: DD348008 00084606
	s_mov_b64 exec, s[36:37]                                   // 000000005984: BEFE0124
	v_mov_b32_e32 v6, v53                                      // 000000005988: 7E0C0335
	s_mov_b64 s[60:61], 0                                      // 00000000598C: BEBC0180
	v_readlane_b32 s82, v3, 2                                  // 000000005990: D2890052 00010503
	s_and_b32 s82, s82, 0xffffff                               // 000000005998: 8652FF52 00FFFFFF
	s_cmp_lt_u32 s82, s66                                      // 0000000059A0: BF0A4252
	s_cselect_b32 s20, s36, s60                                // 0000000059A4: 85143C24
	v_readlane_b32 s82, v3, 3                                  // 0000000059A8: D2890052 00010703
	s_and_b32 s82, s82, 0xffffff                               // 0000000059B0: 8652FF52 00FFFFFF
	s_cmp_lt_u32 s82, s66                                      // 0000000059B8: BF0A4252
	s_cselect_b32 s21, s36, s60                                // 0000000059BC: 85153C24
	s_mov_b64 exec, s[20:21]                                   // 0000000059C0: BEFE0114
	global_atomic_add_f32 v6, v71, s[8:9] offset:8             // 0000000059C4: DD348008 00084706
	s_mov_b64 exec, s[36:37]                                   // 0000000059CC: BEFE0124
	v_mov_b32_e32 v6, v54                                      // 0000000059D0: 7E0C0336
	s_mov_b64 s[60:61], 0                                      // 0000000059D4: BEBC0180
	v_readlane_b32 s82, v3, 4                                  // 0000000059D8: D2890052 00010903
	s_and_b32 s82, s82, 0xffffff                               // 0000000059E0: 8652FF52 00FFFFFF
	s_cmp_lt_u32 s82, s66                                      // 0000000059E8: BF0A4252
	s_cselect_b32 s20, s36, s60                                // 0000000059EC: 85143C24
	v_readlane_b32 s82, v3, 5                                  // 0000000059F0: D2890052 00010B03
	s_and_b32 s82, s82, 0xffffff                               // 0000000059F8: 8652FF52 00FFFFFF
	s_cmp_lt_u32 s82, s66                                      // 000000005A00: BF0A4252
	s_cselect_b32 s21, s36, s60                                // 000000005A04: 85153C24
	s_mov_b64 exec, s[20:21]                                   // 000000005A08: BEFE0114
	global_atomic_add_f32 v6, v74, s[8:9] offset:8             // 000000005A0C: DD348008 00084A06
	s_mov_b64 exec, s[36:37]                                   // 000000005A14: BEFE0124
	v_mov_b32_e32 v6, v55                                      // 000000005A18: 7E0C0337
	s_mov_b64 s[60:61], 0                                      // 000000005A1C: BEBC0180
	v_readlane_b32 s82, v3, 6                                  // 000000005A20: D2890052 00010D03
	s_and_b32 s82, s82, 0xffffff                               // 000000005A28: 8652FF52 00FFFFFF
	s_cmp_lt_u32 s82, s66                                      // 000000005A30: BF0A4252
	s_cselect_b32 s20, s36, s60                                // 000000005A34: 85143C24
	v_readlane_b32 s82, v3, 7                                  // 000000005A38: D2890052 00010F03
	s_and_b32 s82, s82, 0xffffff                               // 000000005A40: 8652FF52 00FFFFFF
	s_cmp_lt_u32 s82, s66                                      // 000000005A48: BF0A4252
	s_cselect_b32 s21, s36, s60                                // 000000005A4C: 85153C24
	s_mov_b64 exec, s[20:21]                                   // 000000005A50: BEFE0114
	global_atomic_add_f32 v6, v75, s[8:9] offset:8             // 000000005A54: DD348008 00084B06
	s_mov_b64 exec, s[36:37]                                   // 000000005A5C: BEFE0124
	v_mov_b32_e32 v6, v56                                      // 000000005A60: 7E0C0338
	s_mov_b64 s[60:61], 0                                      // 000000005A64: BEBC0180
	v_readlane_b32 s82, v3, 8                                  // 000000005A68: D2890052 00011103
	s_and_b32 s82, s82, 0xffffff                               // 000000005A70: 8652FF52 00FFFFFF
	s_cmp_lt_u32 s82, s66                                      // 000000005A78: BF0A4252
	s_cselect_b32 s20, s36, s60                                // 000000005A7C: 85143C24
	v_readlane_b32 s82, v3, 9                                  // 000000005A80: D2890052 00011303
	s_and_b32 s82, s82, 0xffffff                               // 000000005A88: 8652FF52 00FFFFFF
	s_cmp_lt_u32 s82, s66                                      // 000000005A90: BF0A4252
	s_cselect_b32 s21, s36, s60                                // 000000005A94: 85153C24
	s_mov_b64 exec, s[20:21]                                   // 000000005A98: BEFE0114
	global_atomic_add_f32 v6, v78, s[8:9] offset:8             // 000000005A9C: DD348008 00084E06
	s_mov_b64 exec, s[36:37]                                   // 000000005AA4: BEFE0124
	v_mov_b32_e32 v6, v57                                      // 000000005AA8: 7E0C0339
	s_mov_b64 s[60:61], 0                                      // 000000005AAC: BEBC0180
	v_readlane_b32 s82, v3, 10                                 // 000000005AB0: D2890052 00011503
	s_and_b32 s82, s82, 0xffffff                               // 000000005AB8: 8652FF52 00FFFFFF
	s_cmp_lt_u32 s82, s66                                      // 000000005AC0: BF0A4252
	s_cselect_b32 s20, s36, s60                                // 000000005AC4: 85143C24
	v_readlane_b32 s82, v3, 11                                 // 000000005AC8: D2890052 00011703
	s_and_b32 s82, s82, 0xffffff                               // 000000005AD0: 8652FF52 00FFFFFF
	s_cmp_lt_u32 s82, s66                                      // 000000005AD8: BF0A4252
	s_cselect_b32 s21, s36, s60                                // 000000005ADC: 85153C24
	s_mov_b64 exec, s[20:21]                                   // 000000005AE0: BEFE0114
	global_atomic_add_f32 v6, v79, s[8:9] offset:8             // 000000005AE4: DD348008 00084F06
	s_mov_b64 exec, s[36:37]                                   // 000000005AEC: BEFE0124
	v_mov_b32_e32 v6, v58                                      // 000000005AF0: 7E0C033A
	s_mov_b64 s[60:61], 0                                      // 000000005AF4: BEBC0180
	v_readlane_b32 s82, v3, 12                                 // 000000005AF8: D2890052 00011903
	s_and_b32 s82, s82, 0xffffff                               // 000000005B00: 8652FF52 00FFFFFF
	s_cmp_lt_u32 s82, s66                                      // 000000005B08: BF0A4252
	s_cselect_b32 s20, s36, s60                                // 000000005B0C: 85143C24
	v_readlane_b32 s82, v3, 13                                 // 000000005B10: D2890052 00011B03
	s_and_b32 s82, s82, 0xffffff                               // 000000005B18: 8652FF52 00FFFFFF
	s_cmp_lt_u32 s82, s66                                      // 000000005B20: BF0A4252
	s_cselect_b32 s21, s36, s60                                // 000000005B24: 85153C24
	s_mov_b64 exec, s[20:21]                                   // 000000005B28: BEFE0114
	global_atomic_add_f32 v6, v82, s[8:9] offset:8             // 000000005B2C: DD348008 00085206
	s_mov_b64 exec, s[36:37]                                   // 000000005B34: BEFE0124
	v_mov_b32_e32 v6, v59                                      // 000000005B38: 7E0C033B
	s_mov_b64 s[60:61], 0                                      // 000000005B3C: BEBC0180
	v_readlane_b32 s82, v3, 14                                 // 000000005B40: D2890052 00011D03
	s_and_b32 s82, s82, 0xffffff                               // 000000005B48: 8652FF52 00FFFFFF
	s_cmp_lt_u32 s82, s66                                      // 000000005B50: BF0A4252
	s_cselect_b32 s20, s36, s60                                // 000000005B54: 85143C24
	v_readlane_b32 s82, v3, 15                                 // 000000005B58: D2890052 00011F03
	s_and_b32 s82, s82, 0xffffff                               // 000000005B60: 8652FF52 00FFFFFF
	s_cmp_lt_u32 s82, s66                                      // 000000005B68: BF0A4252
	s_cselect_b32 s21, s36, s60                                // 000000005B6C: 85153C24
	s_mov_b64 exec, s[20:21]                                   // 000000005B70: BEFE0114
	global_atomic_add_f32 v6, v83, s[8:9] offset:8             // 000000005B74: DD348008 00085306
	s_mov_b64 exec, s[36:37]                                   // 000000005B7C: BEFE0124
	v_mov_b32_e32 v6, v60                                      // 000000005B80: 7E0C033C
	s_mov_b64 s[60:61], 0                                      // 000000005B84: BEBC0180
	v_readlane_b32 s82, v3, 16                                 // 000000005B88: D2890052 00012103
	s_and_b32 s82, s82, 0xffffff                               // 000000005B90: 8652FF52 00FFFFFF
	s_cmp_lt_u32 s82, s66                                      // 000000005B98: BF0A4252
	s_cselect_b32 s20, s36, s60                                // 000000005B9C: 85143C24
	v_readlane_b32 s82, v3, 17                                 // 000000005BA0: D2890052 00012303
	s_and_b32 s82, s82, 0xffffff                               // 000000005BA8: 8652FF52 00FFFFFF
	s_cmp_lt_u32 s82, s66                                      // 000000005BB0: BF0A4252
	s_cselect_b32 s21, s36, s60                                // 000000005BB4: 85153C24
	s_mov_b64 exec, s[20:21]                                   // 000000005BB8: BEFE0114
	global_atomic_add_f32 v6, v86, s[8:9] offset:8             // 000000005BBC: DD348008 00085606
	s_mov_b64 exec, s[36:37]                                   // 000000005BC4: BEFE0124
	v_mov_b32_e32 v6, v61                                      // 000000005BC8: 7E0C033D
	s_mov_b64 s[60:61], 0                                      // 000000005BCC: BEBC0180
	v_readlane_b32 s82, v3, 18                                 // 000000005BD0: D2890052 00012503
	s_and_b32 s82, s82, 0xffffff                               // 000000005BD8: 8652FF52 00FFFFFF
	s_cmp_lt_u32 s82, s66                                      // 000000005BE0: BF0A4252
	s_cselect_b32 s20, s36, s60                                // 000000005BE4: 85143C24
	v_readlane_b32 s82, v3, 19                                 // 000000005BE8: D2890052 00012703
	s_and_b32 s82, s82, 0xffffff                               // 000000005BF0: 8652FF52 00FFFFFF
	s_cmp_lt_u32 s82, s66                                      // 000000005BF8: BF0A4252
	s_cselect_b32 s21, s36, s60                                // 000000005BFC: 85153C24
	s_mov_b64 exec, s[20:21]                                   // 000000005C00: BEFE0114
	global_atomic_add_f32 v6, v87, s[8:9] offset:8             // 000000005C04: DD348008 00085706
	s_mov_b64 exec, s[36:37]                                   // 000000005C0C: BEFE0124
	v_mov_b32_e32 v6, v62                                      // 000000005C10: 7E0C033E
	s_mov_b64 s[60:61], 0                                      // 000000005C14: BEBC0180
	v_readlane_b32 s82, v3, 20                                 // 000000005C18: D2890052 00012903
	s_and_b32 s82, s82, 0xffffff                               // 000000005C20: 8652FF52 00FFFFFF
	s_cmp_lt_u32 s82, s66                                      // 000000005C28: BF0A4252
	s_cselect_b32 s20, s36, s60                                // 000000005C2C: 85143C24
	v_readlane_b32 s82, v3, 21                                 // 000000005C30: D2890052 00012B03
	s_and_b32 s82, s82, 0xffffff                               // 000000005C38: 8652FF52 00FFFFFF
	s_cmp_lt_u32 s82, s66                                      // 000000005C40: BF0A4252
	s_cselect_b32 s21, s36, s60                                // 000000005C44: 85153C24
	s_mov_b64 exec, s[20:21]                                   // 000000005C48: BEFE0114
	global_atomic_add_f32 v6, v90, s[8:9] offset:8             // 000000005C4C: DD348008 00085A06
	s_mov_b64 exec, s[36:37]                                   // 000000005C54: BEFE0124
	v_mov_b32_e32 v6, v63                                      // 000000005C58: 7E0C033F
	s_mov_b64 s[60:61], 0                                      // 000000005C5C: BEBC0180
	v_readlane_b32 s82, v3, 22                                 // 000000005C60: D2890052 00012D03
	s_and_b32 s82, s82, 0xffffff                               // 000000005C68: 8652FF52 00FFFFFF
	s_cmp_lt_u32 s82, s66                                      // 000000005C70: BF0A4252
	s_cselect_b32 s20, s36, s60                                // 000000005C74: 85143C24
	v_readlane_b32 s82, v3, 23                                 // 000000005C78: D2890052 00012F03
	s_and_b32 s82, s82, 0xffffff                               // 000000005C80: 8652FF52 00FFFFFF
	s_cmp_lt_u32 s82, s66                                      // 000000005C88: BF0A4252
	s_cselect_b32 s21, s36, s60                                // 000000005C8C: 85153C24
	s_mov_b64 exec, s[20:21]                                   // 000000005C90: BEFE0114
	global_atomic_add_f32 v6, v91, s[8:9] offset:8             // 000000005C94: DD348008 00085B06
	s_mov_b64 exec, s[36:37]                                   // 000000005C9C: BEFE0124
	ds_write_b64 v20, v[92:93]                                 // 000000005CA0: D89A0000 00005C14
	ds_write_b64 v20, v[96:97] offset:2176                     // 000000005CA8: D89A0880 00006014
	ds_write_b64 v20, v[100:101] offset:4352                   // 000000005CB0: D89A1100 00006414
	ds_write_b64 v20, v[104:105] offset:6528                   // 000000005CB8: D89A1980 00006814
	ds_write_b64 v20, v[108:109] offset:8704                   // 000000005CC0: D89A2200 00006C14
	ds_write_b64 v20, v[112:113] offset:10880                  // 000000005CC8: D89A2A80 00007014
	s_waitcnt lgkmcnt(0)                                       // 000000005CD0: BF8CC07F
	s_barrier                                                  // 000000005CD4: BF8A0000
	ds_read_b32 v92, v21                                       // 000000005CD8: D86C0000 5C000015
	ds_read_b32 v93, v21 offset:64                             // 000000005CE0: D86C0040 5D000015
	ds_read_b32 v96, v21 offset:2176                           // 000000005CE8: D86C0880 60000015
	ds_read_b32 v97, v21 offset:2240                           // 000000005CF0: D86C08C0 61000015
	ds_read_b32 v100, v21 offset:4352                          // 000000005CF8: D86C1100 64000015
	ds_read_b32 v101, v21 offset:4416                          // 000000005D00: D86C1140 65000015
	ds_read_b32 v104, v21 offset:6528                          // 000000005D08: D86C1980 68000015
	ds_read_b32 v105, v21 offset:6592                          // 000000005D10: D86C19C0 69000015
	ds_read_b32 v108, v21 offset:8704                          // 000000005D18: D86C2200 6C000015
	ds_read_b32 v109, v21 offset:8768                          // 000000005D20: D86C2240 6D000015
	ds_read_b32 v112, v21 offset:10880                         // 000000005D28: D86C2A80 70000015
	ds_read_b32 v113, v21 offset:10944                         // 000000005D30: D86C2AC0 71000015
	s_mul_i32 s60, s65, 4                                      // 000000005D38: 923C8441
	s_add_u32 s8, s60, s8                                      // 000000005D3C: 8008083C
	s_addc_u32 s9, 0, s9                                       // 000000005D40: 82090980
	s_waitcnt lgkmcnt(0)                                       // 000000005D44: BF8CC07F
	v_mov_b32_e32 v7, 0                                        // 000000005D48: 7E0E0280
	s_mov_b64 exec, s[36:37]                                   // 000000005D4C: BEFE0124
	v_mov_b32_e32 v6, v52                                      // 000000005D50: 7E0C0334
	s_mov_b64 s[60:61], 0                                      // 000000005D54: BEBC0180
	v_readlane_b32 s82, v3, 0                                  // 000000005D58: D2890052 00010103
	s_and_b32 s82, s82, 0xffffff                               // 000000005D60: 8652FF52 00FFFFFF
	s_cmp_lt_u32 s82, s66                                      // 000000005D68: BF0A4252
	s_cselect_b32 s20, s36, s60                                // 000000005D6C: 85143C24
	v_readlane_b32 s82, v3, 1                                  // 000000005D70: D2890052 00010303
	s_and_b32 s82, s82, 0xffffff                               // 000000005D78: 8652FF52 00FFFFFF
	s_cmp_lt_u32 s82, s66                                      // 000000005D80: BF0A4252
	s_cselect_b32 s21, s36, s60                                // 000000005D84: 85153C24
	s_mov_b64 exec, s[20:21]                                   // 000000005D88: BEFE0114
	global_atomic_add_f32 v6, v92, s[8:9]                      // 000000005D8C: DD348000 00085C06
	s_mov_b64 exec, s[36:37]                                   // 000000005D94: BEFE0124
	v_mov_b32_e32 v6, v53                                      // 000000005D98: 7E0C0335
	s_mov_b64 s[60:61], 0                                      // 000000005D9C: BEBC0180
	v_readlane_b32 s82, v3, 2                                  // 000000005DA0: D2890052 00010503
	s_and_b32 s82, s82, 0xffffff                               // 000000005DA8: 8652FF52 00FFFFFF
	s_cmp_lt_u32 s82, s66                                      // 000000005DB0: BF0A4252
	s_cselect_b32 s20, s36, s60                                // 000000005DB4: 85143C24
	v_readlane_b32 s82, v3, 3                                  // 000000005DB8: D2890052 00010703
	s_and_b32 s82, s82, 0xffffff                               // 000000005DC0: 8652FF52 00FFFFFF
	s_cmp_lt_u32 s82, s66                                      // 000000005DC8: BF0A4252
	s_cselect_b32 s21, s36, s60                                // 000000005DCC: 85153C24
	s_mov_b64 exec, s[20:21]                                   // 000000005DD0: BEFE0114
	global_atomic_add_f32 v6, v93, s[8:9]                      // 000000005DD4: DD348000 00085D06
	s_mov_b64 exec, s[36:37]                                   // 000000005DDC: BEFE0124
	v_mov_b32_e32 v6, v54                                      // 000000005DE0: 7E0C0336
	s_mov_b64 s[60:61], 0                                      // 000000005DE4: BEBC0180
	v_readlane_b32 s82, v3, 4                                  // 000000005DE8: D2890052 00010903
	s_and_b32 s82, s82, 0xffffff                               // 000000005DF0: 8652FF52 00FFFFFF
	s_cmp_lt_u32 s82, s66                                      // 000000005DF8: BF0A4252
	s_cselect_b32 s20, s36, s60                                // 000000005DFC: 85143C24
	v_readlane_b32 s82, v3, 5                                  // 000000005E00: D2890052 00010B03
	s_and_b32 s82, s82, 0xffffff                               // 000000005E08: 8652FF52 00FFFFFF
	s_cmp_lt_u32 s82, s66                                      // 000000005E10: BF0A4252
	s_cselect_b32 s21, s36, s60                                // 000000005E14: 85153C24
	s_mov_b64 exec, s[20:21]                                   // 000000005E18: BEFE0114
	global_atomic_add_f32 v6, v96, s[8:9]                      // 000000005E1C: DD348000 00086006
	s_mov_b64 exec, s[36:37]                                   // 000000005E24: BEFE0124
	v_mov_b32_e32 v6, v55                                      // 000000005E28: 7E0C0337
	s_mov_b64 s[60:61], 0                                      // 000000005E2C: BEBC0180
	v_readlane_b32 s82, v3, 6                                  // 000000005E30: D2890052 00010D03
	s_and_b32 s82, s82, 0xffffff                               // 000000005E38: 8652FF52 00FFFFFF
	s_cmp_lt_u32 s82, s66                                      // 000000005E40: BF0A4252
	s_cselect_b32 s20, s36, s60                                // 000000005E44: 85143C24
	v_readlane_b32 s82, v3, 7                                  // 000000005E48: D2890052 00010F03
	s_and_b32 s82, s82, 0xffffff                               // 000000005E50: 8652FF52 00FFFFFF
	s_cmp_lt_u32 s82, s66                                      // 000000005E58: BF0A4252
	s_cselect_b32 s21, s36, s60                                // 000000005E5C: 85153C24
	s_mov_b64 exec, s[20:21]                                   // 000000005E60: BEFE0114
	global_atomic_add_f32 v6, v97, s[8:9]                      // 000000005E64: DD348000 00086106
	s_mov_b64 exec, s[36:37]                                   // 000000005E6C: BEFE0124
	v_mov_b32_e32 v6, v56                                      // 000000005E70: 7E0C0338
	s_mov_b64 s[60:61], 0                                      // 000000005E74: BEBC0180
	v_readlane_b32 s82, v3, 8                                  // 000000005E78: D2890052 00011103
	s_and_b32 s82, s82, 0xffffff                               // 000000005E80: 8652FF52 00FFFFFF
	s_cmp_lt_u32 s82, s66                                      // 000000005E88: BF0A4252
	s_cselect_b32 s20, s36, s60                                // 000000005E8C: 85143C24
	v_readlane_b32 s82, v3, 9                                  // 000000005E90: D2890052 00011303
	s_and_b32 s82, s82, 0xffffff                               // 000000005E98: 8652FF52 00FFFFFF
	s_cmp_lt_u32 s82, s66                                      // 000000005EA0: BF0A4252
	s_cselect_b32 s21, s36, s60                                // 000000005EA4: 85153C24
	s_mov_b64 exec, s[20:21]                                   // 000000005EA8: BEFE0114
	global_atomic_add_f32 v6, v100, s[8:9]                     // 000000005EAC: DD348000 00086406
	s_mov_b64 exec, s[36:37]                                   // 000000005EB4: BEFE0124
	v_mov_b32_e32 v6, v57                                      // 000000005EB8: 7E0C0339
	s_mov_b64 s[60:61], 0                                      // 000000005EBC: BEBC0180
	v_readlane_b32 s82, v3, 10                                 // 000000005EC0: D2890052 00011503
	s_and_b32 s82, s82, 0xffffff                               // 000000005EC8: 8652FF52 00FFFFFF
	s_cmp_lt_u32 s82, s66                                      // 000000005ED0: BF0A4252
	s_cselect_b32 s20, s36, s60                                // 000000005ED4: 85143C24
	v_readlane_b32 s82, v3, 11                                 // 000000005ED8: D2890052 00011703
	s_and_b32 s82, s82, 0xffffff                               // 000000005EE0: 8652FF52 00FFFFFF
	s_cmp_lt_u32 s82, s66                                      // 000000005EE8: BF0A4252
	s_cselect_b32 s21, s36, s60                                // 000000005EEC: 85153C24
	s_mov_b64 exec, s[20:21]                                   // 000000005EF0: BEFE0114
	global_atomic_add_f32 v6, v101, s[8:9]                     // 000000005EF4: DD348000 00086506
	s_mov_b64 exec, s[36:37]                                   // 000000005EFC: BEFE0124
	v_mov_b32_e32 v6, v58                                      // 000000005F00: 7E0C033A
	s_mov_b64 s[60:61], 0                                      // 000000005F04: BEBC0180
	v_readlane_b32 s82, v3, 12                                 // 000000005F08: D2890052 00011903
	s_and_b32 s82, s82, 0xffffff                               // 000000005F10: 8652FF52 00FFFFFF
	s_cmp_lt_u32 s82, s66                                      // 000000005F18: BF0A4252
	s_cselect_b32 s20, s36, s60                                // 000000005F1C: 85143C24
	v_readlane_b32 s82, v3, 13                                 // 000000005F20: D2890052 00011B03
	s_and_b32 s82, s82, 0xffffff                               // 000000005F28: 8652FF52 00FFFFFF
	s_cmp_lt_u32 s82, s66                                      // 000000005F30: BF0A4252
	s_cselect_b32 s21, s36, s60                                // 000000005F34: 85153C24
	s_mov_b64 exec, s[20:21]                                   // 000000005F38: BEFE0114
	global_atomic_add_f32 v6, v104, s[8:9]                     // 000000005F3C: DD348000 00086806
	s_mov_b64 exec, s[36:37]                                   // 000000005F44: BEFE0124
	v_mov_b32_e32 v6, v59                                      // 000000005F48: 7E0C033B
	s_mov_b64 s[60:61], 0                                      // 000000005F4C: BEBC0180
	v_readlane_b32 s82, v3, 14                                 // 000000005F50: D2890052 00011D03
	s_and_b32 s82, s82, 0xffffff                               // 000000005F58: 8652FF52 00FFFFFF
	s_cmp_lt_u32 s82, s66                                      // 000000005F60: BF0A4252
	s_cselect_b32 s20, s36, s60                                // 000000005F64: 85143C24
	v_readlane_b32 s82, v3, 15                                 // 000000005F68: D2890052 00011F03
	s_and_b32 s82, s82, 0xffffff                               // 000000005F70: 8652FF52 00FFFFFF
	s_cmp_lt_u32 s82, s66                                      // 000000005F78: BF0A4252
	s_cselect_b32 s21, s36, s60                                // 000000005F7C: 85153C24
	s_mov_b64 exec, s[20:21]                                   // 000000005F80: BEFE0114
	global_atomic_add_f32 v6, v105, s[8:9]                     // 000000005F84: DD348000 00086906
	s_mov_b64 exec, s[36:37]                                   // 000000005F8C: BEFE0124
	v_mov_b32_e32 v6, v60                                      // 000000005F90: 7E0C033C
	s_mov_b64 s[60:61], 0                                      // 000000005F94: BEBC0180
	v_readlane_b32 s82, v3, 16                                 // 000000005F98: D2890052 00012103
	s_and_b32 s82, s82, 0xffffff                               // 000000005FA0: 8652FF52 00FFFFFF
	s_cmp_lt_u32 s82, s66                                      // 000000005FA8: BF0A4252
	s_cselect_b32 s20, s36, s60                                // 000000005FAC: 85143C24
	v_readlane_b32 s82, v3, 17                                 // 000000005FB0: D2890052 00012303
	s_and_b32 s82, s82, 0xffffff                               // 000000005FB8: 8652FF52 00FFFFFF
	s_cmp_lt_u32 s82, s66                                      // 000000005FC0: BF0A4252
	s_cselect_b32 s21, s36, s60                                // 000000005FC4: 85153C24
	s_mov_b64 exec, s[20:21]                                   // 000000005FC8: BEFE0114
	global_atomic_add_f32 v6, v108, s[8:9]                     // 000000005FCC: DD348000 00086C06
	s_mov_b64 exec, s[36:37]                                   // 000000005FD4: BEFE0124
	v_mov_b32_e32 v6, v61                                      // 000000005FD8: 7E0C033D
	s_mov_b64 s[60:61], 0                                      // 000000005FDC: BEBC0180
	v_readlane_b32 s82, v3, 18                                 // 000000005FE0: D2890052 00012503
	s_and_b32 s82, s82, 0xffffff                               // 000000005FE8: 8652FF52 00FFFFFF
	s_cmp_lt_u32 s82, s66                                      // 000000005FF0: BF0A4252
	s_cselect_b32 s20, s36, s60                                // 000000005FF4: 85143C24
	v_readlane_b32 s82, v3, 19                                 // 000000005FF8: D2890052 00012703
	s_and_b32 s82, s82, 0xffffff                               // 000000006000: 8652FF52 00FFFFFF
	s_cmp_lt_u32 s82, s66                                      // 000000006008: BF0A4252
	s_cselect_b32 s21, s36, s60                                // 00000000600C: 85153C24
	s_mov_b64 exec, s[20:21]                                   // 000000006010: BEFE0114
	global_atomic_add_f32 v6, v109, s[8:9]                     // 000000006014: DD348000 00086D06
	s_mov_b64 exec, s[36:37]                                   // 00000000601C: BEFE0124
	v_mov_b32_e32 v6, v62                                      // 000000006020: 7E0C033E
	s_mov_b64 s[60:61], 0                                      // 000000006024: BEBC0180
	v_readlane_b32 s82, v3, 20                                 // 000000006028: D2890052 00012903
	s_and_b32 s82, s82, 0xffffff                               // 000000006030: 8652FF52 00FFFFFF
	s_cmp_lt_u32 s82, s66                                      // 000000006038: BF0A4252
	s_cselect_b32 s20, s36, s60                                // 00000000603C: 85143C24
	v_readlane_b32 s82, v3, 21                                 // 000000006040: D2890052 00012B03
	s_and_b32 s82, s82, 0xffffff                               // 000000006048: 8652FF52 00FFFFFF
	s_cmp_lt_u32 s82, s66                                      // 000000006050: BF0A4252
	s_cselect_b32 s21, s36, s60                                // 000000006054: 85153C24
	s_mov_b64 exec, s[20:21]                                   // 000000006058: BEFE0114
	global_atomic_add_f32 v6, v112, s[8:9]                     // 00000000605C: DD348000 00087006
	s_mov_b64 exec, s[36:37]                                   // 000000006064: BEFE0124
	v_mov_b32_e32 v6, v63                                      // 000000006068: 7E0C033F
	s_mov_b64 s[60:61], 0                                      // 00000000606C: BEBC0180
	v_readlane_b32 s82, v3, 22                                 // 000000006070: D2890052 00012D03
	s_and_b32 s82, s82, 0xffffff                               // 000000006078: 8652FF52 00FFFFFF
	s_cmp_lt_u32 s82, s66                                      // 000000006080: BF0A4252
	s_cselect_b32 s20, s36, s60                                // 000000006084: 85143C24
	v_readlane_b32 s82, v3, 23                                 // 000000006088: D2890052 00012F03
	s_and_b32 s82, s82, 0xffffff                               // 000000006090: 8652FF52 00FFFFFF
	s_cmp_lt_u32 s82, s66                                      // 000000006098: BF0A4252
	s_cselect_b32 s21, s36, s60                                // 00000000609C: 85153C24
	s_mov_b64 exec, s[20:21]                                   // 0000000060A0: BEFE0114
	global_atomic_add_f32 v6, v113, s[8:9]                     // 0000000060A4: DD348000 00087106
	s_mov_b64 exec, s[36:37]                                   // 0000000060AC: BEFE0124
	ds_write_b64 v20, v[94:95]                                 // 0000000060B0: D89A0000 00005E14
	ds_write_b64 v20, v[98:99] offset:2176                     // 0000000060B8: D89A0880 00006214
	ds_write_b64 v20, v[102:103] offset:4352                   // 0000000060C0: D89A1100 00006614
	ds_write_b64 v20, v[106:107] offset:6528                   // 0000000060C8: D89A1980 00006A14
	ds_write_b64 v20, v[110:111] offset:8704                   // 0000000060D0: D89A2200 00006E14
	ds_write_b64 v20, v[114:115] offset:10880                  // 0000000060D8: D89A2A80 00007214
	s_waitcnt lgkmcnt(0)                                       // 0000000060E0: BF8CC07F
	s_barrier                                                  // 0000000060E4: BF8A0000
	ds_read_b32 v94, v21                                       // 0000000060E8: D86C0000 5E000015
	ds_read_b32 v95, v21 offset:64                             // 0000000060F0: D86C0040 5F000015
	ds_read_b32 v98, v21 offset:2176                           // 0000000060F8: D86C0880 62000015
	ds_read_b32 v99, v21 offset:2240                           // 000000006100: D86C08C0 63000015
	ds_read_b32 v102, v21 offset:4352                          // 000000006108: D86C1100 66000015
	ds_read_b32 v103, v21 offset:4416                          // 000000006110: D86C1140 67000015
	ds_read_b32 v106, v21 offset:6528                          // 000000006118: D86C1980 6A000015
	ds_read_b32 v107, v21 offset:6592                          // 000000006120: D86C19C0 6B000015
	ds_read_b32 v110, v21 offset:8704                          // 000000006128: D86C2200 6E000015
	ds_read_b32 v111, v21 offset:8768                          // 000000006130: D86C2240 6F000015
	ds_read_b32 v114, v21 offset:10880                         // 000000006138: D86C2A80 72000015
	ds_read_b32 v115, v21 offset:10944                         // 000000006140: D86C2AC0 73000015
	s_waitcnt lgkmcnt(0)                                       // 000000006148: BF8CC07F
	v_mov_b32_e32 v7, 0                                        // 00000000614C: 7E0E0280
	s_mov_b64 exec, s[36:37]                                   // 000000006150: BEFE0124
	v_mov_b32_e32 v6, v52                                      // 000000006154: 7E0C0334
	s_mov_b64 s[60:61], 0                                      // 000000006158: BEBC0180
	v_readlane_b32 s82, v3, 0                                  // 00000000615C: D2890052 00010103
	s_and_b32 s82, s82, 0xffffff                               // 000000006164: 8652FF52 00FFFFFF
	s_cmp_lt_u32 s82, s66                                      // 00000000616C: BF0A4252
	s_cselect_b32 s20, s36, s60                                // 000000006170: 85143C24
	v_readlane_b32 s82, v3, 1                                  // 000000006174: D2890052 00010303
	s_and_b32 s82, s82, 0xffffff                               // 00000000617C: 8652FF52 00FFFFFF
	s_cmp_lt_u32 s82, s66                                      // 000000006184: BF0A4252
	s_cselect_b32 s21, s36, s60                                // 000000006188: 85153C24
	s_mov_b64 exec, s[20:21]                                   // 00000000618C: BEFE0114
	global_atomic_add_f32 v6, v94, s[8:9] offset:8             // 000000006190: DD348008 00085E06
	s_mov_b64 exec, s[36:37]                                   // 000000006198: BEFE0124
	v_mov_b32_e32 v6, v53                                      // 00000000619C: 7E0C0335
	s_mov_b64 s[60:61], 0                                      // 0000000061A0: BEBC0180
	v_readlane_b32 s82, v3, 2                                  // 0000000061A4: D2890052 00010503
	s_and_b32 s82, s82, 0xffffff                               // 0000000061AC: 8652FF52 00FFFFFF
	s_cmp_lt_u32 s82, s66                                      // 0000000061B4: BF0A4252
	s_cselect_b32 s20, s36, s60                                // 0000000061B8: 85143C24
	v_readlane_b32 s82, v3, 3                                  // 0000000061BC: D2890052 00010703
	s_and_b32 s82, s82, 0xffffff                               // 0000000061C4: 8652FF52 00FFFFFF
	s_cmp_lt_u32 s82, s66                                      // 0000000061CC: BF0A4252
	s_cselect_b32 s21, s36, s60                                // 0000000061D0: 85153C24
	s_mov_b64 exec, s[20:21]                                   // 0000000061D4: BEFE0114
	global_atomic_add_f32 v6, v95, s[8:9] offset:8             // 0000000061D8: DD348008 00085F06
	s_mov_b64 exec, s[36:37]                                   // 0000000061E0: BEFE0124
	v_mov_b32_e32 v6, v54                                      // 0000000061E4: 7E0C0336
	s_mov_b64 s[60:61], 0                                      // 0000000061E8: BEBC0180
	v_readlane_b32 s82, v3, 4                                  // 0000000061EC: D2890052 00010903
	s_and_b32 s82, s82, 0xffffff                               // 0000000061F4: 8652FF52 00FFFFFF
	s_cmp_lt_u32 s82, s66                                      // 0000000061FC: BF0A4252
	s_cselect_b32 s20, s36, s60                                // 000000006200: 85143C24
	v_readlane_b32 s82, v3, 5                                  // 000000006204: D2890052 00010B03
	s_and_b32 s82, s82, 0xffffff                               // 00000000620C: 8652FF52 00FFFFFF
	s_cmp_lt_u32 s82, s66                                      // 000000006214: BF0A4252
	s_cselect_b32 s21, s36, s60                                // 000000006218: 85153C24
	s_mov_b64 exec, s[20:21]                                   // 00000000621C: BEFE0114
	global_atomic_add_f32 v6, v98, s[8:9] offset:8             // 000000006220: DD348008 00086206
	s_mov_b64 exec, s[36:37]                                   // 000000006228: BEFE0124
	v_mov_b32_e32 v6, v55                                      // 00000000622C: 7E0C0337
	s_mov_b64 s[60:61], 0                                      // 000000006230: BEBC0180
	v_readlane_b32 s82, v3, 6                                  // 000000006234: D2890052 00010D03
	s_and_b32 s82, s82, 0xffffff                               // 00000000623C: 8652FF52 00FFFFFF
	s_cmp_lt_u32 s82, s66                                      // 000000006244: BF0A4252
	s_cselect_b32 s20, s36, s60                                // 000000006248: 85143C24
	v_readlane_b32 s82, v3, 7                                  // 00000000624C: D2890052 00010F03
	s_and_b32 s82, s82, 0xffffff                               // 000000006254: 8652FF52 00FFFFFF
	s_cmp_lt_u32 s82, s66                                      // 00000000625C: BF0A4252
	s_cselect_b32 s21, s36, s60                                // 000000006260: 85153C24
	s_mov_b64 exec, s[20:21]                                   // 000000006264: BEFE0114
	global_atomic_add_f32 v6, v99, s[8:9] offset:8             // 000000006268: DD348008 00086306
	s_mov_b64 exec, s[36:37]                                   // 000000006270: BEFE0124
	v_mov_b32_e32 v6, v56                                      // 000000006274: 7E0C0338
	s_mov_b64 s[60:61], 0                                      // 000000006278: BEBC0180
	v_readlane_b32 s82, v3, 8                                  // 00000000627C: D2890052 00011103
	s_and_b32 s82, s82, 0xffffff                               // 000000006284: 8652FF52 00FFFFFF
	s_cmp_lt_u32 s82, s66                                      // 00000000628C: BF0A4252
	s_cselect_b32 s20, s36, s60                                // 000000006290: 85143C24
	v_readlane_b32 s82, v3, 9                                  // 000000006294: D2890052 00011303
	s_and_b32 s82, s82, 0xffffff                               // 00000000629C: 8652FF52 00FFFFFF
	s_cmp_lt_u32 s82, s66                                      // 0000000062A4: BF0A4252
	s_cselect_b32 s21, s36, s60                                // 0000000062A8: 85153C24
	s_mov_b64 exec, s[20:21]                                   // 0000000062AC: BEFE0114
	global_atomic_add_f32 v6, v102, s[8:9] offset:8            // 0000000062B0: DD348008 00086606
	s_mov_b64 exec, s[36:37]                                   // 0000000062B8: BEFE0124
	v_mov_b32_e32 v6, v57                                      // 0000000062BC: 7E0C0339
	s_mov_b64 s[60:61], 0                                      // 0000000062C0: BEBC0180
	v_readlane_b32 s82, v3, 10                                 // 0000000062C4: D2890052 00011503
	s_and_b32 s82, s82, 0xffffff                               // 0000000062CC: 8652FF52 00FFFFFF
	s_cmp_lt_u32 s82, s66                                      // 0000000062D4: BF0A4252
	s_cselect_b32 s20, s36, s60                                // 0000000062D8: 85143C24
	v_readlane_b32 s82, v3, 11                                 // 0000000062DC: D2890052 00011703
	s_and_b32 s82, s82, 0xffffff                               // 0000000062E4: 8652FF52 00FFFFFF
	s_cmp_lt_u32 s82, s66                                      // 0000000062EC: BF0A4252
	s_cselect_b32 s21, s36, s60                                // 0000000062F0: 85153C24
	s_mov_b64 exec, s[20:21]                                   // 0000000062F4: BEFE0114
	global_atomic_add_f32 v6, v103, s[8:9] offset:8            // 0000000062F8: DD348008 00086706
	s_mov_b64 exec, s[36:37]                                   // 000000006300: BEFE0124
	v_mov_b32_e32 v6, v58                                      // 000000006304: 7E0C033A
	s_mov_b64 s[60:61], 0                                      // 000000006308: BEBC0180
	v_readlane_b32 s82, v3, 12                                 // 00000000630C: D2890052 00011903
	s_and_b32 s82, s82, 0xffffff                               // 000000006314: 8652FF52 00FFFFFF
	s_cmp_lt_u32 s82, s66                                      // 00000000631C: BF0A4252
	s_cselect_b32 s20, s36, s60                                // 000000006320: 85143C24
	v_readlane_b32 s82, v3, 13                                 // 000000006324: D2890052 00011B03
	s_and_b32 s82, s82, 0xffffff                               // 00000000632C: 8652FF52 00FFFFFF
	s_cmp_lt_u32 s82, s66                                      // 000000006334: BF0A4252
	s_cselect_b32 s21, s36, s60                                // 000000006338: 85153C24
	s_mov_b64 exec, s[20:21]                                   // 00000000633C: BEFE0114
	global_atomic_add_f32 v6, v106, s[8:9] offset:8            // 000000006340: DD348008 00086A06
	s_mov_b64 exec, s[36:37]                                   // 000000006348: BEFE0124
	v_mov_b32_e32 v6, v59                                      // 00000000634C: 7E0C033B
	s_mov_b64 s[60:61], 0                                      // 000000006350: BEBC0180
	v_readlane_b32 s82, v3, 14                                 // 000000006354: D2890052 00011D03
	s_and_b32 s82, s82, 0xffffff                               // 00000000635C: 8652FF52 00FFFFFF
	s_cmp_lt_u32 s82, s66                                      // 000000006364: BF0A4252
	s_cselect_b32 s20, s36, s60                                // 000000006368: 85143C24
	v_readlane_b32 s82, v3, 15                                 // 00000000636C: D2890052 00011F03
	s_and_b32 s82, s82, 0xffffff                               // 000000006374: 8652FF52 00FFFFFF
	s_cmp_lt_u32 s82, s66                                      // 00000000637C: BF0A4252
	s_cselect_b32 s21, s36, s60                                // 000000006380: 85153C24
	s_mov_b64 exec, s[20:21]                                   // 000000006384: BEFE0114
	global_atomic_add_f32 v6, v107, s[8:9] offset:8            // 000000006388: DD348008 00086B06
	s_mov_b64 exec, s[36:37]                                   // 000000006390: BEFE0124
	v_mov_b32_e32 v6, v60                                      // 000000006394: 7E0C033C
	s_mov_b64 s[60:61], 0                                      // 000000006398: BEBC0180
	v_readlane_b32 s82, v3, 16                                 // 00000000639C: D2890052 00012103
	s_and_b32 s82, s82, 0xffffff                               // 0000000063A4: 8652FF52 00FFFFFF
	s_cmp_lt_u32 s82, s66                                      // 0000000063AC: BF0A4252
	s_cselect_b32 s20, s36, s60                                // 0000000063B0: 85143C24
	v_readlane_b32 s82, v3, 17                                 // 0000000063B4: D2890052 00012303
	s_and_b32 s82, s82, 0xffffff                               // 0000000063BC: 8652FF52 00FFFFFF
	s_cmp_lt_u32 s82, s66                                      // 0000000063C4: BF0A4252
	s_cselect_b32 s21, s36, s60                                // 0000000063C8: 85153C24
	s_mov_b64 exec, s[20:21]                                   // 0000000063CC: BEFE0114
	global_atomic_add_f32 v6, v110, s[8:9] offset:8            // 0000000063D0: DD348008 00086E06
	s_mov_b64 exec, s[36:37]                                   // 0000000063D8: BEFE0124
	v_mov_b32_e32 v6, v61                                      // 0000000063DC: 7E0C033D
	s_mov_b64 s[60:61], 0                                      // 0000000063E0: BEBC0180
	v_readlane_b32 s82, v3, 18                                 // 0000000063E4: D2890052 00012503
	s_and_b32 s82, s82, 0xffffff                               // 0000000063EC: 8652FF52 00FFFFFF
	s_cmp_lt_u32 s82, s66                                      // 0000000063F4: BF0A4252
	s_cselect_b32 s20, s36, s60                                // 0000000063F8: 85143C24
	v_readlane_b32 s82, v3, 19                                 // 0000000063FC: D2890052 00012703
	s_and_b32 s82, s82, 0xffffff                               // 000000006404: 8652FF52 00FFFFFF
	s_cmp_lt_u32 s82, s66                                      // 00000000640C: BF0A4252
	s_cselect_b32 s21, s36, s60                                // 000000006410: 85153C24
	s_mov_b64 exec, s[20:21]                                   // 000000006414: BEFE0114
	global_atomic_add_f32 v6, v111, s[8:9] offset:8            // 000000006418: DD348008 00086F06
	s_mov_b64 exec, s[36:37]                                   // 000000006420: BEFE0124
	v_mov_b32_e32 v6, v62                                      // 000000006424: 7E0C033E
	s_mov_b64 s[60:61], 0                                      // 000000006428: BEBC0180
	v_readlane_b32 s82, v3, 20                                 // 00000000642C: D2890052 00012903
	s_and_b32 s82, s82, 0xffffff                               // 000000006434: 8652FF52 00FFFFFF
	s_cmp_lt_u32 s82, s66                                      // 00000000643C: BF0A4252
	s_cselect_b32 s20, s36, s60                                // 000000006440: 85143C24
	v_readlane_b32 s82, v3, 21                                 // 000000006444: D2890052 00012B03
	s_and_b32 s82, s82, 0xffffff                               // 00000000644C: 8652FF52 00FFFFFF
	s_cmp_lt_u32 s82, s66                                      // 000000006454: BF0A4252
	s_cselect_b32 s21, s36, s60                                // 000000006458: 85153C24
	s_mov_b64 exec, s[20:21]                                   // 00000000645C: BEFE0114
	global_atomic_add_f32 v6, v114, s[8:9] offset:8            // 000000006460: DD348008 00087206
	s_mov_b64 exec, s[36:37]                                   // 000000006468: BEFE0124
	v_mov_b32_e32 v6, v63                                      // 00000000646C: 7E0C033F
	s_mov_b64 s[60:61], 0                                      // 000000006470: BEBC0180
	v_readlane_b32 s82, v3, 22                                 // 000000006474: D2890052 00012D03
	s_and_b32 s82, s82, 0xffffff                               // 00000000647C: 8652FF52 00FFFFFF
	s_cmp_lt_u32 s82, s66                                      // 000000006484: BF0A4252
	s_cselect_b32 s20, s36, s60                                // 000000006488: 85143C24
	v_readlane_b32 s82, v3, 23                                 // 00000000648C: D2890052 00012F03
	s_and_b32 s82, s82, 0xffffff                               // 000000006494: 8652FF52 00FFFFFF
	s_cmp_lt_u32 s82, s66                                      // 00000000649C: BF0A4252
	s_cselect_b32 s21, s36, s60                                // 0000000064A0: 85153C24
	s_mov_b64 exec, s[20:21]                                   // 0000000064A4: BEFE0114
	global_atomic_add_f32 v6, v115, s[8:9] offset:8            // 0000000064A8: DD348008 00087306
	s_mov_b64 exec, s[36:37]                                   // 0000000064B0: BEFE0124
	s_branch label_1A83                                        // 0000000064B4: BF820BD2

00000000000064b8 <label_0EB1>:
	s_waitcnt vmcnt(0) lgkmcnt(0)                              // 0000000064B8: BF8C0070
	s_barrier                                                  // 0000000064BC: BF8A0000
	v_mfma_f32_16x16x32_fp8_fp8 v[68:71], a[96:97], a[0:1], v[68:71]// 0000000064C0: D3F30044 1D120160
	buffer_load_dwordx4 a[104:107], v64, s[84:87], 0 offen     // 0000000064C8: E05C1000 80956840
	v_mfma_f32_16x16x32_fp8_fp8 v[68:71], a[98:99], a[2:3], v[68:71]// 0000000064D0: D3F30044 1D120562
	v_mfma_f32_16x16x32_fp8_fp8 v[68:71], a[100:101], a[4:5], v[68:71]// 0000000064D8: D3F30044 1D120964
	v_mfma_f32_16x16x32_fp8_fp8 v[68:71], a[102:103], a[6:7], v[68:71]// 0000000064E0: D3F30044 1D120D66
	v_mfma_f32_16x16x32_fp8_fp8 v[72:75], a[96:97], a[8:9], v[72:75]// 0000000064E8: D3F30048 1D221160
	buffer_load_dwordx4 a[108:111], v64, s[84:87], 0 offen offset:1024// 0000000064F0: E05C1400 80956C40
	buffer_load_dword v52, s[20:23], 0 offen lds               // 0000000064F8: E0511000 80050034
	s_add_u32 m0, 0x100, s48                                   // 000000006500: 807C30FF 00000100
	v_mfma_f32_16x16x32_fp8_fp8 v[72:75], a[98:99], a[10:11], v[72:75]// 000000006508: D3F30048 1D221562
	v_mfma_f32_16x16x32_fp8_fp8 v[72:75], a[100:101], a[12:13], v[72:75]// 000000006510: D3F30048 1D221964
	buffer_load_dword v53, s[20:23], 0 offen lds               // 000000006518: E0511000 80050035
	s_add_u32 m0, 0x200, s48                                   // 000000006520: 807C30FF 00000200
	v_mfma_f32_16x16x32_fp8_fp8 v[72:75], a[102:103], a[14:15], v[72:75]// 000000006528: D3F30048 1D221D66
	v_mfma_f32_16x16x32_fp8_fp8 v[76:79], a[96:97], a[16:17], v[76:79]// 000000006530: D3F3004C 1D322160
	buffer_load_dword v54, s[20:23], 0 offen lds               // 000000006538: E0511000 80050036
	s_add_u32 m0, 0x300, s48                                   // 000000006540: 807C30FF 00000300
	v_mfma_f32_16x16x32_fp8_fp8 v[76:79], a[98:99], a[18:19], v[76:79]// 000000006548: D3F3004C 1D322562
	v_mfma_f32_16x16x32_fp8_fp8 v[76:79], a[100:101], a[20:21], v[76:79]// 000000006550: D3F3004C 1D322964
	buffer_load_dword v55, s[20:23], 0 offen lds               // 000000006558: E0511000 80050037
	s_add_u32 m0, 0x400, s48                                   // 000000006560: 807C30FF 00000400
	v_mfma_f32_16x16x32_fp8_fp8 v[76:79], a[102:103], a[22:23], v[76:79]// 000000006568: D3F3004C 1D322D66
	v_mfma_f32_16x16x32_fp8_fp8 v[80:83], a[96:97], a[24:25], v[80:83]// 000000006570: D3F30050 1D423160
	buffer_load_dword v56, s[20:23], 0 offen lds               // 000000006578: E0511000 80050038
	s_add_u32 m0, 0x500, s48                                   // 000000006580: 807C30FF 00000500
	v_mfma_f32_16x16x32_fp8_fp8 v[80:83], a[98:99], a[26:27], v[80:83]// 000000006588: D3F30050 1D423562
	v_mfma_f32_16x16x32_fp8_fp8 v[80:83], a[100:101], a[28:29], v[80:83]// 000000006590: D3F30050 1D423964
	buffer_load_dword v57, s[20:23], 0 offen lds               // 000000006598: E0511000 80050039
	s_add_u32 m0, 0x600, s48                                   // 0000000065A0: 807C30FF 00000600
	v_mfma_f32_16x16x32_fp8_fp8 v[80:83], a[102:103], a[30:31], v[80:83]// 0000000065A8: D3F30050 1D423D66
	v_mfma_f32_16x16x32_fp8_fp8 v[84:87], a[96:97], a[32:33], v[84:87]// 0000000065B0: D3F30054 1D524160
	buffer_load_dword v58, s[20:23], 0 offen lds               // 0000000065B8: E0511000 8005003A
	s_add_u32 m0, 0x700, s48                                   // 0000000065C0: 807C30FF 00000700
	v_mfma_f32_16x16x32_fp8_fp8 v[84:87], a[98:99], a[34:35], v[84:87]// 0000000065C8: D3F30054 1D524562
	v_mfma_f32_16x16x32_fp8_fp8 v[84:87], a[100:101], a[36:37], v[84:87]// 0000000065D0: D3F30054 1D524964
	buffer_load_dword v59, s[20:23], 0 offen lds               // 0000000065D8: E0511000 8005003B
	s_add_u32 m0, 0x800, s48                                   // 0000000065E0: 807C30FF 00000800
	v_mfma_f32_16x16x32_fp8_fp8 v[84:87], a[102:103], a[38:39], v[84:87]// 0000000065E8: D3F30054 1D524D66
	v_mfma_f32_16x16x32_fp8_fp8 v[88:91], a[96:97], a[40:41], v[88:91]// 0000000065F0: D3F30058 1D625160
	buffer_load_dword v60, s[20:23], 0 offen lds               // 0000000065F8: E0511000 8005003C
	s_add_u32 m0, 0x900, s48                                   // 000000006600: 807C30FF 00000900
	v_mfma_f32_16x16x32_fp8_fp8 v[88:91], a[98:99], a[42:43], v[88:91]// 000000006608: D3F30058 1D625562
	s_add_u32 s60, 0x80, s80                                   // 000000006610: 803C50FF 00000080
	s_cmp_lt_u32 s60, s81                                      // 000000006618: BF0A513C
	s_cselect_b32 s83, s83, 0                                  // 00000000661C: 85538053
	v_mfma_f32_16x16x32_fp8_fp8 v[88:91], a[100:101], a[44:45], v[88:91]// 000000006620: D3F30058 1D625964
	buffer_load_dword v61, s[20:23], 0 offen lds               // 000000006628: E0511000 8005003D
	s_add_u32 m0, 0xa00, s48                                   // 000000006630: 807C30FF 00000A00
	v_mfma_f32_16x16x32_fp8_fp8 v[88:91], a[102:103], a[46:47], v[88:91]// 000000006638: D3F30058 1D625D66
	buffer_load_dword v62, s[20:23], 0 offen lds               // 000000006640: E0511000 8005003E
	s_add_u32 m0, 0xb00, s48                                   // 000000006648: 807C30FF 00000B00
	buffer_load_dword v63, s[20:23], 0 offen lds               // 000000006650: E0511000 8005003F
	s_add_u32 m0, 0, s49                                       // 000000006658: 807C3180
	s_waitcnt vmcnt(12)                                        // 00000000665C: BF8C0F7C
	v_mfma_f32_16x16x32_fp8_fp8 v[92:95], a[104:105], a[0:1], v[92:95]// 000000006660: D3F3005C 1D720168
	buffer_load_dwordx4 a[96:99], v64, s[24:27], 0 offen       // 000000006668: E05C1000 80866040
	v_mfma_f32_16x16x32_fp8_fp8 v[92:95], a[106:107], a[2:3], v[92:95]// 000000006670: D3F3005C 1D72056A
	v_mfma_f32_16x16x32_fp8_fp8 v[92:95], a[108:109], a[4:5], v[92:95]// 000000006678: D3F3005C 1D72096C
	ds_read_b128 a[48:51], v2 offset:12416                     // 000000006680: DBFE3080 30000002
	ds_read_b128 a[52:55], v2 offset:12480                     // 000000006688: DBFE30C0 34000002
	v_mfma_f32_16x16x32_fp8_fp8 v[92:95], a[110:111], a[6:7], v[92:95]// 000000006690: D3F3005C 1D720D6E
	v_mfma_f32_16x16x32_fp8_fp8 v[96:99], a[104:105], a[8:9], v[96:99]// 000000006698: D3F30060 1D821168
	buffer_load_dwordx4 a[100:103], v64, s[24:27], 0 offen offset:1024// 0000000066A0: E05C1400 80866440
	v_mfma_f32_16x16x32_fp8_fp8 v[96:99], a[106:107], a[10:11], v[96:99]// 0000000066A8: D3F30060 1D82156A
	v_mfma_f32_16x16x32_fp8_fp8 v[96:99], a[108:109], a[12:13], v[96:99]// 0000000066B0: D3F30060 1D82196C
	ds_read_b128 a[56:59], v2 offset:12928                     // 0000000066B8: DBFE3280 38000002
	ds_read_b128 a[60:63], v2 offset:12992                     // 0000000066C0: DBFE32C0 3C000002
	v_mfma_f32_16x16x32_fp8_fp8 v[96:99], a[110:111], a[14:15], v[96:99]// 0000000066C8: D3F30060 1D821D6E
	v_mfma_f32_16x16x32_fp8_fp8 v[100:103], a[104:105], a[16:17], v[100:103]// 0000000066D0: D3F30064 1D922168
	v_mfma_f32_16x16x32_fp8_fp8 v[100:103], a[106:107], a[18:19], v[100:103]// 0000000066D8: D3F30064 1D92256A
	v_mfma_f32_16x16x32_fp8_fp8 v[100:103], a[108:109], a[20:21], v[100:103]// 0000000066E0: D3F30064 1D92296C
	ds_read_b128 a[64:67], v2 offset:13440                     // 0000000066E8: DBFE3480 40000002
	ds_read_b128 a[68:71], v2 offset:13504                     // 0000000066F0: DBFE34C0 44000002
	v_mfma_f32_16x16x32_fp8_fp8 v[100:103], a[110:111], a[22:23], v[100:103]// 0000000066F8: D3F30064 1D922D6E
	v_mfma_f32_16x16x32_fp8_fp8 v[104:107], a[104:105], a[24:25], v[104:107]// 000000006700: D3F30068 1DA23168
	v_mfma_f32_16x16x32_fp8_fp8 v[104:107], a[106:107], a[26:27], v[104:107]// 000000006708: D3F30068 1DA2356A
	v_mfma_f32_16x16x32_fp8_fp8 v[104:107], a[108:109], a[28:29], v[104:107]// 000000006710: D3F30068 1DA2396C
	ds_read_b128 a[72:75], v2 offset:13952                     // 000000006718: DBFE3680 48000002
	ds_read_b128 a[76:79], v2 offset:14016                     // 000000006720: DBFE36C0 4C000002
	v_mfma_f32_16x16x32_fp8_fp8 v[104:107], a[110:111], a[30:31], v[104:107]// 000000006728: D3F30068 1DA23D6E
	v_mfma_f32_16x16x32_fp8_fp8 v[108:111], a[104:105], a[32:33], v[108:111]// 000000006730: D3F3006C 1DB24168
	v_mfma_f32_16x16x32_fp8_fp8 v[108:111], a[106:107], a[34:35], v[108:111]// 000000006738: D3F3006C 1DB2456A
	v_mfma_f32_16x16x32_fp8_fp8 v[108:111], a[108:109], a[36:37], v[108:111]// 000000006740: D3F3006C 1DB2496C
	ds_read_b128 a[80:83], v2 offset:14464                     // 000000006748: DBFE3880 50000002
	ds_read_b128 a[84:87], v2 offset:14528                     // 000000006750: DBFE38C0 54000002
	s_add_u32 s60, 0x180, s80                                  // 000000006758: 803C50FF 00000180
	s_cmp_lt_u32 s60, s81                                      // 000000006760: BF0A513C
	s_cselect_b32 s57, s57, 0                                  // 000000006764: 85398039
	v_mfma_f32_16x16x32_fp8_fp8 v[108:111], a[110:111], a[38:39], v[108:111]// 000000006768: D3F3006C 1DB24D6E
	s_add_u32 s60, 0x100, s80                                  // 000000006770: 803C50FF 00000100
	s_cmp_lt_u32 s60, s81                                      // 000000006778: BF0A513C
	s_cselect_b32 s58, s58, 0                                  // 00000000677C: 853A803A
	v_mfma_f32_16x16x32_fp8_fp8 v[112:115], a[104:105], a[40:41], v[112:115]// 000000006780: D3F30070 1DC25168
	s_add_u32 s24, s58, s24                                    // 000000006788: 8018183A
	s_addc_u32 s25, 0, s25                                     // 00000000678C: 82191980
	v_mfma_f32_16x16x32_fp8_fp8 v[112:115], a[106:107], a[42:43], v[112:115]// 000000006790: D3F30070 1DC2556A
	s_add_u32 s20, s57, s20                                    // 000000006798: 80141439
	s_addc_u32 s21, 0, s21                                     // 00000000679C: 82151580
	v_mfma_f32_16x16x32_fp8_fp8 v[112:115], a[108:109], a[44:45], v[112:115]// 0000000067A0: D3F30070 1DC2596C
	ds_read_b128 a[88:91], v2 offset:14976                     // 0000000067A8: DBFE3A80 58000002
	ds_read_b128 a[92:95], v2 offset:15040                     // 0000000067B0: DBFE3AC0 5C000002
	s_add_u32 s84, s83, s84                                    // 0000000067B8: 80545453
	s_addc_u32 s85, 0, s85                                     // 0000000067BC: 82555580
	v_mfma_f32_16x16x32_fp8_fp8 v[112:115], a[110:111], a[46:47], v[112:115]// 0000000067C0: D3F30070 1DC25D6E
	s_addk_i32 s80, 0x80                                       // 0000000067C8: B7500080
	s_cmp_lt_i32 s80, s81                                      // 0000000067CC: BF045150
	s_cbranch_scc0 label_1040                                  // 0000000067D0: BF8400C8
	s_waitcnt vmcnt(0) lgkmcnt(0)                              // 0000000067D4: BF8C0070
	s_barrier                                                  // 0000000067D8: BF8A0000
	v_mfma_f32_16x16x32_fp8_fp8 v[68:71], a[96:97], a[48:49], v[68:71]// 0000000067DC: D3F30044 1D126160
	buffer_load_dwordx4 a[104:107], v64, s[84:87], 0 offen     // 0000000067E4: E05C1000 80956840
	v_mfma_f32_16x16x32_fp8_fp8 v[68:71], a[98:99], a[50:51], v[68:71]// 0000000067EC: D3F30044 1D126562
	v_mfma_f32_16x16x32_fp8_fp8 v[68:71], a[100:101], a[52:53], v[68:71]// 0000000067F4: D3F30044 1D126964
	v_mfma_f32_16x16x32_fp8_fp8 v[68:71], a[102:103], a[54:55], v[68:71]// 0000000067FC: D3F30044 1D126D66
	v_mfma_f32_16x16x32_fp8_fp8 v[72:75], a[96:97], a[56:57], v[72:75]// 000000006804: D3F30048 1D227160
	buffer_load_dwordx4 a[108:111], v64, s[84:87], 0 offen offset:1024// 00000000680C: E05C1400 80956C40
	buffer_load_dword v52, s[20:23], 0 offen lds               // 000000006814: E0511000 80050034
	s_add_u32 m0, 0x100, s49                                   // 00000000681C: 807C31FF 00000100
	v_mfma_f32_16x16x32_fp8_fp8 v[72:75], a[98:99], a[58:59], v[72:75]// 000000006824: D3F30048 1D227562
	v_mfma_f32_16x16x32_fp8_fp8 v[72:75], a[100:101], a[60:61], v[72:75]// 00000000682C: D3F30048 1D227964
	buffer_load_dword v53, s[20:23], 0 offen lds               // 000000006834: E0511000 80050035
	s_add_u32 m0, 0x200, s49                                   // 00000000683C: 807C31FF 00000200
	v_mfma_f32_16x16x32_fp8_fp8 v[72:75], a[102:103], a[62:63], v[72:75]// 000000006844: D3F30048 1D227D66
	v_mfma_f32_16x16x32_fp8_fp8 v[76:79], a[96:97], a[64:65], v[76:79]// 00000000684C: D3F3004C 1D328160
	buffer_load_dword v54, s[20:23], 0 offen lds               // 000000006854: E0511000 80050036
	s_add_u32 m0, 0x300, s49                                   // 00000000685C: 807C31FF 00000300
	v_mfma_f32_16x16x32_fp8_fp8 v[76:79], a[98:99], a[66:67], v[76:79]// 000000006864: D3F3004C 1D328562
	v_mfma_f32_16x16x32_fp8_fp8 v[76:79], a[100:101], a[68:69], v[76:79]// 00000000686C: D3F3004C 1D328964
	buffer_load_dword v55, s[20:23], 0 offen lds               // 000000006874: E0511000 80050037
	s_add_u32 m0, 0x400, s49                                   // 00000000687C: 807C31FF 00000400
	v_mfma_f32_16x16x32_fp8_fp8 v[76:79], a[102:103], a[70:71], v[76:79]// 000000006884: D3F3004C 1D328D66
	v_mfma_f32_16x16x32_fp8_fp8 v[80:83], a[96:97], a[72:73], v[80:83]// 00000000688C: D3F30050 1D429160
	buffer_load_dword v56, s[20:23], 0 offen lds               // 000000006894: E0511000 80050038
	s_add_u32 m0, 0x500, s49                                   // 00000000689C: 807C31FF 00000500
	v_mfma_f32_16x16x32_fp8_fp8 v[80:83], a[98:99], a[74:75], v[80:83]// 0000000068A4: D3F30050 1D429562
	v_mfma_f32_16x16x32_fp8_fp8 v[80:83], a[100:101], a[76:77], v[80:83]// 0000000068AC: D3F30050 1D429964
	buffer_load_dword v57, s[20:23], 0 offen lds               // 0000000068B4: E0511000 80050039
	s_add_u32 m0, 0x600, s49                                   // 0000000068BC: 807C31FF 00000600
	v_mfma_f32_16x16x32_fp8_fp8 v[80:83], a[102:103], a[78:79], v[80:83]// 0000000068C4: D3F30050 1D429D66
	v_mfma_f32_16x16x32_fp8_fp8 v[84:87], a[96:97], a[80:81], v[84:87]// 0000000068CC: D3F30054 1D52A160
	buffer_load_dword v58, s[20:23], 0 offen lds               // 0000000068D4: E0511000 8005003A
	s_add_u32 m0, 0x700, s49                                   // 0000000068DC: 807C31FF 00000700
	v_mfma_f32_16x16x32_fp8_fp8 v[84:87], a[98:99], a[82:83], v[84:87]// 0000000068E4: D3F30054 1D52A562
	v_mfma_f32_16x16x32_fp8_fp8 v[84:87], a[100:101], a[84:85], v[84:87]// 0000000068EC: D3F30054 1D52A964
	buffer_load_dword v59, s[20:23], 0 offen lds               // 0000000068F4: E0511000 8005003B
	s_add_u32 m0, 0x800, s49                                   // 0000000068FC: 807C31FF 00000800
	v_mfma_f32_16x16x32_fp8_fp8 v[84:87], a[102:103], a[86:87], v[84:87]// 000000006904: D3F30054 1D52AD66
	v_mfma_f32_16x16x32_fp8_fp8 v[88:91], a[96:97], a[88:89], v[88:91]// 00000000690C: D3F30058 1D62B160
	buffer_load_dword v60, s[20:23], 0 offen lds               // 000000006914: E0511000 8005003C
	s_add_u32 m0, 0x900, s49                                   // 00000000691C: 807C31FF 00000900
	v_mfma_f32_16x16x32_fp8_fp8 v[88:91], a[98:99], a[90:91], v[88:91]// 000000006924: D3F30058 1D62B562
	s_add_u32 s60, 0x80, s80                                   // 00000000692C: 803C50FF 00000080
	s_cmp_lt_u32 s60, s81                                      // 000000006934: BF0A513C
	s_cselect_b32 s83, s83, 0                                  // 000000006938: 85538053
	v_mfma_f32_16x16x32_fp8_fp8 v[88:91], a[100:101], a[92:93], v[88:91]// 00000000693C: D3F30058 1D62B964
	buffer_load_dword v61, s[20:23], 0 offen lds               // 000000006944: E0511000 8005003D
	s_add_u32 m0, 0xa00, s49                                   // 00000000694C: 807C31FF 00000A00
	v_mfma_f32_16x16x32_fp8_fp8 v[88:91], a[102:103], a[94:95], v[88:91]// 000000006954: D3F30058 1D62BD66
	buffer_load_dword v62, s[20:23], 0 offen lds               // 00000000695C: E0511000 8005003E
	s_add_u32 m0, 0xb00, s49                                   // 000000006964: 807C31FF 00000B00
	buffer_load_dword v63, s[20:23], 0 offen lds               // 00000000696C: E0511000 8005003F
	s_add_u32 m0, 0, s48                                       // 000000006974: 807C3080
	s_waitcnt vmcnt(12)                                        // 000000006978: BF8C0F7C
	v_mfma_f32_16x16x32_fp8_fp8 v[92:95], a[104:105], a[48:49], v[92:95]// 00000000697C: D3F3005C 1D726168
	buffer_load_dwordx4 a[96:99], v64, s[24:27], 0 offen       // 000000006984: E05C1000 80866040
	v_mfma_f32_16x16x32_fp8_fp8 v[92:95], a[106:107], a[50:51], v[92:95]// 00000000698C: D3F3005C 1D72656A
	v_mfma_f32_16x16x32_fp8_fp8 v[92:95], a[108:109], a[52:53], v[92:95]// 000000006994: D3F3005C 1D72696C
	ds_read_b128 a[0:3], v2                                    // 00000000699C: DBFE0000 00000002
	ds_read_b128 a[4:7], v2 offset:64                          // 0000000069A4: DBFE0040 04000002
	v_mfma_f32_16x16x32_fp8_fp8 v[92:95], a[110:111], a[54:55], v[92:95]// 0000000069AC: D3F3005C 1D726D6E
	v_mfma_f32_16x16x32_fp8_fp8 v[96:99], a[104:105], a[56:57], v[96:99]// 0000000069B4: D3F30060 1D827168
	buffer_load_dwordx4 a[100:103], v64, s[24:27], 0 offen offset:1024// 0000000069BC: E05C1400 80866440
	v_mfma_f32_16x16x32_fp8_fp8 v[96:99], a[106:107], a[58:59], v[96:99]// 0000000069C4: D3F30060 1D82756A
	v_mfma_f32_16x16x32_fp8_fp8 v[96:99], a[108:109], a[60:61], v[96:99]// 0000000069CC: D3F30060 1D82796C
	ds_read_b128 a[8:11], v2 offset:512                        // 0000000069D4: DBFE0200 08000002
	ds_read_b128 a[12:15], v2 offset:576                       // 0000000069DC: DBFE0240 0C000002
	v_mfma_f32_16x16x32_fp8_fp8 v[96:99], a[110:111], a[62:63], v[96:99]// 0000000069E4: D3F30060 1D827D6E
	v_mfma_f32_16x16x32_fp8_fp8 v[100:103], a[104:105], a[64:65], v[100:103]// 0000000069EC: D3F30064 1D928168
	v_mfma_f32_16x16x32_fp8_fp8 v[100:103], a[106:107], a[66:67], v[100:103]// 0000000069F4: D3F30064 1D92856A
	v_mfma_f32_16x16x32_fp8_fp8 v[100:103], a[108:109], a[68:69], v[100:103]// 0000000069FC: D3F30064 1D92896C
	ds_read_b128 a[16:19], v2 offset:1024                      // 000000006A04: DBFE0400 10000002
	ds_read_b128 a[20:23], v2 offset:1088                      // 000000006A0C: DBFE0440 14000002
	v_mfma_f32_16x16x32_fp8_fp8 v[100:103], a[110:111], a[70:71], v[100:103]// 000000006A14: D3F30064 1D928D6E
	v_mfma_f32_16x16x32_fp8_fp8 v[104:107], a[104:105], a[72:73], v[104:107]// 000000006A1C: D3F30068 1DA29168
	v_mfma_f32_16x16x32_fp8_fp8 v[104:107], a[106:107], a[74:75], v[104:107]// 000000006A24: D3F30068 1DA2956A
	v_mfma_f32_16x16x32_fp8_fp8 v[104:107], a[108:109], a[76:77], v[104:107]// 000000006A2C: D3F30068 1DA2996C
	ds_read_b128 a[24:27], v2 offset:1536                      // 000000006A34: DBFE0600 18000002
	ds_read_b128 a[28:31], v2 offset:1600                      // 000000006A3C: DBFE0640 1C000002
	v_mfma_f32_16x16x32_fp8_fp8 v[104:107], a[110:111], a[78:79], v[104:107]// 000000006A44: D3F30068 1DA29D6E
	v_mfma_f32_16x16x32_fp8_fp8 v[108:111], a[104:105], a[80:81], v[108:111]// 000000006A4C: D3F3006C 1DB2A168
	v_mfma_f32_16x16x32_fp8_fp8 v[108:111], a[106:107], a[82:83], v[108:111]// 000000006A54: D3F3006C 1DB2A56A
	v_mfma_f32_16x16x32_fp8_fp8 v[108:111], a[108:109], a[84:85], v[108:111]// 000000006A5C: D3F3006C 1DB2A96C
	ds_read_b128 a[32:35], v2 offset:2048                      // 000000006A64: DBFE0800 20000002
	ds_read_b128 a[36:39], v2 offset:2112                      // 000000006A6C: DBFE0840 24000002
	s_add_u32 s60, 0x180, s80                                  // 000000006A74: 803C50FF 00000180
	s_cmp_lt_u32 s60, s81                                      // 000000006A7C: BF0A513C
	s_cselect_b32 s57, s57, 0                                  // 000000006A80: 85398039
	v_mfma_f32_16x16x32_fp8_fp8 v[108:111], a[110:111], a[86:87], v[108:111]// 000000006A84: D3F3006C 1DB2AD6E
	s_add_u32 s60, 0x100, s80                                  // 000000006A8C: 803C50FF 00000100
	s_cmp_lt_u32 s60, s81                                      // 000000006A94: BF0A513C
	s_cselect_b32 s58, s58, 0                                  // 000000006A98: 853A803A
	v_mfma_f32_16x16x32_fp8_fp8 v[112:115], a[104:105], a[88:89], v[112:115]// 000000006A9C: D3F30070 1DC2B168
	s_add_u32 s24, s58, s24                                    // 000000006AA4: 8018183A
	s_addc_u32 s25, 0, s25                                     // 000000006AA8: 82191980
	v_mfma_f32_16x16x32_fp8_fp8 v[112:115], a[106:107], a[90:91], v[112:115]// 000000006AAC: D3F30070 1DC2B56A
	s_add_u32 s20, s57, s20                                    // 000000006AB4: 80141439
	s_addc_u32 s21, 0, s21                                     // 000000006AB8: 82151580
	v_mfma_f32_16x16x32_fp8_fp8 v[112:115], a[108:109], a[92:93], v[112:115]// 000000006ABC: D3F30070 1DC2B96C
	ds_read_b128 a[40:43], v2 offset:2560                      // 000000006AC4: DBFE0A00 28000002
	ds_read_b128 a[44:47], v2 offset:2624                      // 000000006ACC: DBFE0A40 2C000002
	s_add_u32 s84, s83, s84                                    // 000000006AD4: 80545453
	s_addc_u32 s85, 0, s85                                     // 000000006AD8: 82555580
	v_mfma_f32_16x16x32_fp8_fp8 v[112:115], a[110:111], a[94:95], v[112:115]// 000000006ADC: D3F30070 1DC2BD6E
	s_addk_i32 s80, 0x80                                       // 000000006AE4: B7500080
	s_cmp_lt_i32 s80, s81                                      // 000000006AE8: BF045150
	s_cbranch_scc0 label_1040                                  // 000000006AEC: BF840001
	s_branch label_0EB1                                        // 000000006AF0: BF82FE71

0000000000006af4 <label_1040>:
	v_mul_f32_dpp v68, v24, v68 row_newbcast:0 row_mask:0xf bank_mask:0xf// 000000006AF4: 0A8888FA FF015018
	v_mul_f32_dpp v69, v24, v69 row_newbcast:1 row_mask:0xf bank_mask:0xf// 000000006AFC: 0A8A8AFA FF015118
	v_mul_f32_dpp v70, v24, v70 row_newbcast:2 row_mask:0xf bank_mask:0xf// 000000006B04: 0A8C8CFA FF015218
	v_mul_f32_dpp v71, v24, v71 row_newbcast:3 row_mask:0xf bank_mask:0xf// 000000006B0C: 0A8E8EFA FF015318
	v_mul_f32_dpp v72, v24, v72 row_newbcast:0 row_mask:0xf bank_mask:0xf// 000000006B14: 0A9090FA FF015018
	v_mul_f32_dpp v73, v24, v73 row_newbcast:1 row_mask:0xf bank_mask:0xf// 000000006B1C: 0A9292FA FF015118
	v_mul_f32_dpp v74, v24, v74 row_newbcast:2 row_mask:0xf bank_mask:0xf// 000000006B24: 0A9494FA FF015218
	v_mul_f32_dpp v75, v24, v75 row_newbcast:3 row_mask:0xf bank_mask:0xf// 000000006B2C: 0A9696FA FF015318
	v_mul_f32_dpp v76, v24, v76 row_newbcast:0 row_mask:0xf bank_mask:0xf// 000000006B34: 0A9898FA FF015018
	v_mul_f32_dpp v77, v24, v77 row_newbcast:1 row_mask:0xf bank_mask:0xf// 000000006B3C: 0A9A9AFA FF015118
	v_mul_f32_dpp v78, v24, v78 row_newbcast:2 row_mask:0xf bank_mask:0xf// 000000006B44: 0A9C9CFA FF015218
	v_mul_f32_dpp v79, v24, v79 row_newbcast:3 row_mask:0xf bank_mask:0xf// 000000006B4C: 0A9E9EFA FF015318
	v_mul_f32_dpp v80, v24, v80 row_newbcast:0 row_mask:0xf bank_mask:0xf// 000000006B54: 0AA0A0FA FF015018
	v_mul_f32_dpp v81, v24, v81 row_newbcast:1 row_mask:0xf bank_mask:0xf// 000000006B5C: 0AA2A2FA FF015118
	v_mul_f32_dpp v82, v24, v82 row_newbcast:2 row_mask:0xf bank_mask:0xf// 000000006B64: 0AA4A4FA FF015218
	v_mul_f32_dpp v83, v24, v83 row_newbcast:3 row_mask:0xf bank_mask:0xf// 000000006B6C: 0AA6A6FA FF015318
	v_mul_f32_dpp v84, v24, v84 row_newbcast:0 row_mask:0xf bank_mask:0xf// 000000006B74: 0AA8A8FA FF015018
	v_mul_f32_dpp v85, v24, v85 row_newbcast:1 row_mask:0xf bank_mask:0xf// 000000006B7C: 0AAAAAFA FF015118
	v_mul_f32_dpp v86, v24, v86 row_newbcast:2 row_mask:0xf bank_mask:0xf// 000000006B84: 0AACACFA FF015218
	v_mul_f32_dpp v87, v24, v87 row_newbcast:3 row_mask:0xf bank_mask:0xf// 000000006B8C: 0AAEAEFA FF015318
	v_mul_f32_dpp v88, v24, v88 row_newbcast:0 row_mask:0xf bank_mask:0xf// 000000006B94: 0AB0B0FA FF015018
	v_mul_f32_dpp v89, v24, v89 row_newbcast:1 row_mask:0xf bank_mask:0xf// 000000006B9C: 0AB2B2FA FF015118
	v_mul_f32_dpp v90, v24, v90 row_newbcast:2 row_mask:0xf bank_mask:0xf// 000000006BA4: 0AB4B4FA FF015218
	v_mul_f32_dpp v91, v24, v91 row_newbcast:3 row_mask:0xf bank_mask:0xf// 000000006BAC: 0AB6B6FA FF015318
	v_mul_f32_dpp v92, v26, v92 row_newbcast:0 row_mask:0xf bank_mask:0xf// 000000006BB4: 0AB8B8FA FF01501A
	v_mul_f32_dpp v93, v26, v93 row_newbcast:1 row_mask:0xf bank_mask:0xf// 000000006BBC: 0ABABAFA FF01511A
	v_mul_f32_dpp v94, v26, v94 row_newbcast:2 row_mask:0xf bank_mask:0xf// 000000006BC4: 0ABCBCFA FF01521A
	v_mul_f32_dpp v95, v26, v95 row_newbcast:3 row_mask:0xf bank_mask:0xf// 000000006BCC: 0ABEBEFA FF01531A
	v_mul_f32_dpp v96, v26, v96 row_newbcast:0 row_mask:0xf bank_mask:0xf// 000000006BD4: 0AC0C0FA FF01501A
	v_mul_f32_dpp v97, v26, v97 row_newbcast:1 row_mask:0xf bank_mask:0xf// 000000006BDC: 0AC2C2FA FF01511A
	v_mul_f32_dpp v98, v26, v98 row_newbcast:2 row_mask:0xf bank_mask:0xf// 000000006BE4: 0AC4C4FA FF01521A
	v_mul_f32_dpp v99, v26, v99 row_newbcast:3 row_mask:0xf bank_mask:0xf// 000000006BEC: 0AC6C6FA FF01531A
	v_mul_f32_dpp v100, v26, v100 row_newbcast:0 row_mask:0xf bank_mask:0xf// 000000006BF4: 0AC8C8FA FF01501A
	v_mul_f32_dpp v101, v26, v101 row_newbcast:1 row_mask:0xf bank_mask:0xf// 000000006BFC: 0ACACAFA FF01511A
	v_mul_f32_dpp v102, v26, v102 row_newbcast:2 row_mask:0xf bank_mask:0xf// 000000006C04: 0ACCCCFA FF01521A
	v_mul_f32_dpp v103, v26, v103 row_newbcast:3 row_mask:0xf bank_mask:0xf// 000000006C0C: 0ACECEFA FF01531A
	v_mul_f32_dpp v104, v26, v104 row_newbcast:0 row_mask:0xf bank_mask:0xf// 000000006C14: 0AD0D0FA FF01501A
	v_mul_f32_dpp v105, v26, v105 row_newbcast:1 row_mask:0xf bank_mask:0xf// 000000006C1C: 0AD2D2FA FF01511A
	v_mul_f32_dpp v106, v26, v106 row_newbcast:2 row_mask:0xf bank_mask:0xf// 000000006C24: 0AD4D4FA FF01521A
	v_mul_f32_dpp v107, v26, v107 row_newbcast:3 row_mask:0xf bank_mask:0xf// 000000006C2C: 0AD6D6FA FF01531A
	v_mul_f32_dpp v108, v26, v108 row_newbcast:0 row_mask:0xf bank_mask:0xf// 000000006C34: 0AD8D8FA FF01501A
	v_mul_f32_dpp v109, v26, v109 row_newbcast:1 row_mask:0xf bank_mask:0xf// 000000006C3C: 0ADADAFA FF01511A
	v_mul_f32_dpp v110, v26, v110 row_newbcast:2 row_mask:0xf bank_mask:0xf// 000000006C44: 0ADCDCFA FF01521A
	v_mul_f32_dpp v111, v26, v111 row_newbcast:3 row_mask:0xf bank_mask:0xf// 000000006C4C: 0ADEDEFA FF01531A
	v_mul_f32_dpp v112, v26, v112 row_newbcast:0 row_mask:0xf bank_mask:0xf// 000000006C54: 0AE0E0FA FF01501A
	v_mul_f32_dpp v113, v26, v113 row_newbcast:1 row_mask:0xf bank_mask:0xf// 000000006C5C: 0AE2E2FA FF01511A
	v_mul_f32_dpp v114, v26, v114 row_newbcast:2 row_mask:0xf bank_mask:0xf// 000000006C64: 0AE4E4FA FF01521A
	v_mul_f32_dpp v115, v26, v115 row_newbcast:3 row_mask:0xf bank_mask:0xf// 000000006C6C: 0AE6E6FA FF01531A
	v_mul_f32_e32 v34, v34, v116                               // 000000006C74: 0A44E922
	v_mov_b32_e32 v4, v34                                      // 000000006C78: 7E080322
	v_mov_b32_e32 v5, v4                                       // 000000006C7C: 7E0A0304
	v_pk_mul_f32 v[68:69], v[4:5], v[68:69]                    // 000000006C80: D3B14044 18028904
	v_pk_mul_f32 v[92:93], v[4:5], v[92:93]                    // 000000006C88: D3B1405C 1802B904
	v_pk_mul_f32 v[70:71], v[4:5], v[70:71]                    // 000000006C90: D3B14046 18028D04
	v_pk_mul_f32 v[94:95], v[4:5], v[94:95]                    // 000000006C98: D3B1405E 1802BD04
	v_mul_f32_e32 v35, v35, v117                               // 000000006CA0: 0A46EB23
	v_mov_b32_e32 v4, v35                                      // 000000006CA4: 7E080323
	v_mov_b32_e32 v5, v4                                       // 000000006CA8: 7E0A0304
	v_pk_mul_f32 v[72:73], v[4:5], v[72:73]                    // 000000006CAC: D3B14048 18029104
	v_pk_mul_f32 v[96:97], v[4:5], v[96:97]                    // 000000006CB4: D3B14060 1802C104
	v_pk_mul_f32 v[74:75], v[4:5], v[74:75]                    // 000000006CBC: D3B1404A 18029504
	v_pk_mul_f32 v[98:99], v[4:5], v[98:99]                    // 000000006CC4: D3B14062 1802C504
	v_mul_f32_e32 v36, v36, v118                               // 000000006CCC: 0A48ED24
	v_mov_b32_e32 v4, v36                                      // 000000006CD0: 7E080324
	v_mov_b32_e32 v5, v4                                       // 000000006CD4: 7E0A0304
	v_pk_mul_f32 v[76:77], v[4:5], v[76:77]                    // 000000006CD8: D3B1404C 18029904
	v_pk_mul_f32 v[100:101], v[4:5], v[100:101]                // 000000006CE0: D3B14064 1802C904
	v_pk_mul_f32 v[78:79], v[4:5], v[78:79]                    // 000000006CE8: D3B1404E 18029D04
	v_pk_mul_f32 v[102:103], v[4:5], v[102:103]                // 000000006CF0: D3B14066 1802CD04
	v_mul_f32_e32 v37, v37, v119                               // 000000006CF8: 0A4AEF25
	v_mov_b32_e32 v4, v37                                      // 000000006CFC: 7E080325
	v_mov_b32_e32 v5, v4                                       // 000000006D00: 7E0A0304
	v_pk_mul_f32 v[80:81], v[4:5], v[80:81]                    // 000000006D04: D3B14050 1802A104
	v_pk_mul_f32 v[104:105], v[4:5], v[104:105]                // 000000006D0C: D3B14068 1802D104
	v_pk_mul_f32 v[82:83], v[4:5], v[82:83]                    // 000000006D14: D3B14052 1802A504
	v_pk_mul_f32 v[106:107], v[4:5], v[106:107]                // 000000006D1C: D3B1406A 1802D504
	v_mul_f32_e32 v38, v38, v120                               // 000000006D24: 0A4CF126
	v_mov_b32_e32 v4, v38                                      // 000000006D28: 7E080326
	v_mov_b32_e32 v5, v4                                       // 000000006D2C: 7E0A0304
	v_pk_mul_f32 v[84:85], v[4:5], v[84:85]                    // 000000006D30: D3B14054 1802A904
	v_pk_mul_f32 v[108:109], v[4:5], v[108:109]                // 000000006D38: D3B1406C 1802D904
	v_pk_mul_f32 v[86:87], v[4:5], v[86:87]                    // 000000006D40: D3B14056 1802AD04
	v_pk_mul_f32 v[110:111], v[4:5], v[110:111]                // 000000006D48: D3B1406E 1802DD04
	v_mul_f32_e32 v39, v39, v121                               // 000000006D50: 0A4EF327
	v_mov_b32_e32 v4, v39                                      // 000000006D54: 7E080327
	v_mov_b32_e32 v5, v4                                       // 000000006D58: 7E0A0304
	v_pk_mul_f32 v[88:89], v[4:5], v[88:89]                    // 000000006D5C: D3B14058 1802B104
	v_pk_mul_f32 v[112:113], v[4:5], v[112:113]                // 000000006D64: D3B14070 1802E104
	v_pk_mul_f32 v[90:91], v[4:5], v[90:91]                    // 000000006D6C: D3B1405A 1802B504
	v_pk_mul_f32 v[114:115], v[4:5], v[114:115]                // 000000006D74: D3B14072 1802E504
	s_cmp_eq_u32 s88, 0                                        // 000000006D7C: BF068058
	s_cbranch_scc0 label_1561                                  // 000000006D80: BF84047D
	s_cmp_eq_u32 s89, 0                                        // 000000006D84: BF068059
	s_cbranch_scc1 label_11DB                                  // 000000006D88: BF8500F5
	v_mov_b32_e32 v8, v1                                       // 000000006D8C: 7E100301
	v_mov_b32_e32 v9, v1                                       // 000000006D90: 7E120301
	s_mov_b32 s60, s6                                          // 000000006D94: BEBC0006
	s_mov_b32 s61, s6                                          // 000000006D98: BEBD0006
	v_pk_mul_f32 v[4:5], v[68:69], v[68:69]                    // 000000006D9C: D3B14004 18028944
	v_pk_mul_f32 v[6:7], v[70:71], v[70:71]                    // 000000006DA4: D3B14006 18028D46
	v_pk_fma_f32 v[4:5], v[4:5], s[78:79], v[8:9]              // 000000006DAC: D3B04004 1C209D04
	v_pk_fma_f32 v[6:7], v[6:7], s[78:79], v[8:9]              // 000000006DB4: D3B04006 1C209D06
	v_pk_mul_f32 v[4:5], v[4:5], v[68:69]                      // 000000006DBC: D3B14004 18028904
	v_pk_mul_f32 v[6:7], v[6:7], v[70:71]                      // 000000006DC4: D3B14006 18028D06
	v_pk_mul_f32 v[4:5], v[4:5], s[60:61]                      // 000000006DCC: D3B14004 18007904
	v_pk_mul_f32 v[6:7], v[6:7], s[60:61]                      // 000000006DD4: D3B14006 18007906
	v_exp_f32_e32 v4, v4                                       // 000000006DDC: 7E084104
	v_exp_f32_e32 v5, v5                                       // 000000006DE0: 7E0A4105
	v_exp_f32_e32 v6, v6                                       // 000000006DE4: 7E0C4106
	v_exp_f32_e32 v7, v7                                       // 000000006DE8: 7E0E4107
	v_add_f32_e64 v4, v4, 1.0                                  // 000000006DEC: D1010004 0001E504
	v_add_f32_e64 v5, v5, 1.0                                  // 000000006DF4: D1010005 0001E505
	v_add_f32_e64 v6, v6, 1.0                                  // 000000006DFC: D1010006 0001E506
	v_add_f32_e64 v7, v7, 1.0                                  // 000000006E04: D1010007 0001E507
	v_rcp_f32_e32 v4, v4                                       // 000000006E0C: 7E084504
	v_rcp_f32_e32 v5, v5                                       // 000000006E10: 7E0A4505
	v_rcp_f32_e32 v6, v6                                       // 000000006E14: 7E0C4506
	v_rcp_f32_e32 v7, v7                                       // 000000006E18: 7E0E4507
	v_mul_f32_e32 v68, v68, v4                                 // 000000006E1C: 0A880944
	v_mul_f32_e32 v69, v69, v5                                 // 000000006E20: 0A8A0B45
	v_mul_f32_e32 v70, v70, v6                                 // 000000006E24: 0A8C0D46
	v_mul_f32_e32 v71, v71, v7                                 // 000000006E28: 0A8E0F47
	v_mul_f32_e32 v68, v68, v92                                // 000000006E2C: 0A88B944
	v_mul_f32_e32 v69, v69, v93                                // 000000006E30: 0A8ABB45
	v_mul_f32_e32 v70, v70, v94                                // 000000006E34: 0A8CBD46
	v_mul_f32_e32 v71, v71, v95                                // 000000006E38: 0A8EBF47
	v_pk_mul_f32 v[4:5], v[72:73], v[72:73]                    // 000000006E3C: D3B14004 18029148
	v_pk_mul_f32 v[6:7], v[74:75], v[74:75]                    // 000000006E44: D3B14006 1802954A
	v_pk_fma_f32 v[4:5], v[4:5], s[78:79], v[8:9]              // 000000006E4C: D3B04004 1C209D04
	v_pk_fma_f32 v[6:7], v[6:7], s[78:79], v[8:9]              // 000000006E54: D3B04006 1C209D06
	v_pk_mul_f32 v[4:5], v[4:5], v[72:73]                      // 000000006E5C: D3B14004 18029104
	v_pk_mul_f32 v[6:7], v[6:7], v[74:75]                      // 000000006E64: D3B14006 18029506
	v_pk_mul_f32 v[4:5], v[4:5], s[60:61]                      // 000000006E6C: D3B14004 18007904
	v_pk_mul_f32 v[6:7], v[6:7], s[60:61]                      // 000000006E74: D3B14006 18007906
	v_exp_f32_e32 v4, v4                                       // 000000006E7C: 7E084104
	v_exp_f32_e32 v5, v5                                       // 000000006E80: 7E0A4105
	v_exp_f32_e32 v6, v6                                       // 000000006E84: 7E0C4106
	v_exp_f32_e32 v7, v7                                       // 000000006E88: 7E0E4107
	v_add_f32_e64 v4, v4, 1.0                                  // 000000006E8C: D1010004 0001E504
	v_add_f32_e64 v5, v5, 1.0                                  // 000000006E94: D1010005 0001E505
	v_add_f32_e64 v6, v6, 1.0                                  // 000000006E9C: D1010006 0001E506
	v_add_f32_e64 v7, v7, 1.0                                  // 000000006EA4: D1010007 0001E507
	v_rcp_f32_e32 v4, v4                                       // 000000006EAC: 7E084504
	v_rcp_f32_e32 v5, v5                                       // 000000006EB0: 7E0A4505
	v_rcp_f32_e32 v6, v6                                       // 000000006EB4: 7E0C4506
	v_rcp_f32_e32 v7, v7                                       // 000000006EB8: 7E0E4507
	v_mul_f32_e32 v72, v72, v4                                 // 000000006EBC: 0A900948
	v_mul_f32_e32 v73, v73, v5                                 // 000000006EC0: 0A920B49
	v_mul_f32_e32 v74, v74, v6                                 // 000000006EC4: 0A940D4A
	v_mul_f32_e32 v75, v75, v7                                 // 000000006EC8: 0A960F4B
	v_mul_f32_e32 v72, v72, v96                                // 000000006ECC: 0A90C148
	v_mul_f32_e32 v73, v73, v97                                // 000000006ED0: 0A92C349
	v_mul_f32_e32 v74, v74, v98                                // 000000006ED4: 0A94C54A
	v_mul_f32_e32 v75, v75, v99                                // 000000006ED8: 0A96C74B
	v_pk_mul_f32 v[4:5], v[76:77], v[76:77]                    // 000000006EDC: D3B14004 1802994C
	v_pk_mul_f32 v[6:7], v[78:79], v[78:79]                    // 000000006EE4: D3B14006 18029D4E
	v_pk_fma_f32 v[4:5], v[4:5], s[78:79], v[8:9]              // 000000006EEC: D3B04004 1C209D04
	v_pk_fma_f32 v[6:7], v[6:7], s[78:79], v[8:9]              // 000000006EF4: D3B04006 1C209D06
	v_pk_mul_f32 v[4:5], v[4:5], v[76:77]                      // 000000006EFC: D3B14004 18029904
	v_pk_mul_f32 v[6:7], v[6:7], v[78:79]                      // 000000006F04: D3B14006 18029D06
	v_pk_mul_f32 v[4:5], v[4:5], s[60:61]                      // 000000006F0C: D3B14004 18007904
	v_pk_mul_f32 v[6:7], v[6:7], s[60:61]                      // 000000006F14: D3B14006 18007906
	v_exp_f32_e32 v4, v4                                       // 000000006F1C: 7E084104
	v_exp_f32_e32 v5, v5                                       // 000000006F20: 7E0A4105
	v_exp_f32_e32 v6, v6                                       // 000000006F24: 7E0C4106
	v_exp_f32_e32 v7, v7                                       // 000000006F28: 7E0E4107
	v_add_f32_e64 v4, v4, 1.0                                  // 000000006F2C: D1010004 0001E504
	v_add_f32_e64 v5, v5, 1.0                                  // 000000006F34: D1010005 0001E505
	v_add_f32_e64 v6, v6, 1.0                                  // 000000006F3C: D1010006 0001E506
	v_add_f32_e64 v7, v7, 1.0                                  // 000000006F44: D1010007 0001E507
	v_rcp_f32_e32 v4, v4                                       // 000000006F4C: 7E084504
	v_rcp_f32_e32 v5, v5                                       // 000000006F50: 7E0A4505
	v_rcp_f32_e32 v6, v6                                       // 000000006F54: 7E0C4506
	v_rcp_f32_e32 v7, v7                                       // 000000006F58: 7E0E4507
	v_mul_f32_e32 v76, v76, v4                                 // 000000006F5C: 0A98094C
	v_mul_f32_e32 v77, v77, v5                                 // 000000006F60: 0A9A0B4D
	v_mul_f32_e32 v78, v78, v6                                 // 000000006F64: 0A9C0D4E
	v_mul_f32_e32 v79, v79, v7                                 // 000000006F68: 0A9E0F4F
	v_mul_f32_e32 v76, v76, v100                               // 000000006F6C: 0A98C94C
	v_mul_f32_e32 v77, v77, v101                               // 000000006F70: 0A9ACB4D
	v_mul_f32_e32 v78, v78, v102                               // 000000006F74: 0A9CCD4E
	v_mul_f32_e32 v79, v79, v103                               // 000000006F78: 0A9ECF4F
	v_pk_mul_f32 v[4:5], v[80:81], v[80:81]                    // 000000006F7C: D3B14004 1802A150
	v_pk_mul_f32 v[6:7], v[82:83], v[82:83]                    // 000000006F84: D3B14006 1802A552
	v_pk_fma_f32 v[4:5], v[4:5], s[78:79], v[8:9]              // 000000006F8C: D3B04004 1C209D04
	v_pk_fma_f32 v[6:7], v[6:7], s[78:79], v[8:9]              // 000000006F94: D3B04006 1C209D06
	v_pk_mul_f32 v[4:5], v[4:5], v[80:81]                      // 000000006F9C: D3B14004 1802A104
	v_pk_mul_f32 v[6:7], v[6:7], v[82:83]                      // 000000006FA4: D3B14006 1802A506
	v_pk_mul_f32 v[4:5], v[4:5], s[60:61]                      // 000000006FAC: D3B14004 18007904
	v_pk_mul_f32 v[6:7], v[6:7], s[60:61]                      // 000000006FB4: D3B14006 18007906
	v_exp_f32_e32 v4, v4                                       // 000000006FBC: 7E084104
	v_exp_f32_e32 v5, v5                                       // 000000006FC0: 7E0A4105
	v_exp_f32_e32 v6, v6                                       // 000000006FC4: 7E0C4106
	v_exp_f32_e32 v7, v7                                       // 000000006FC8: 7E0E4107
	v_add_f32_e64 v4, v4, 1.0                                  // 000000006FCC: D1010004 0001E504
	v_add_f32_e64 v5, v5, 1.0                                  // 000000006FD4: D1010005 0001E505
	v_add_f32_e64 v6, v6, 1.0                                  // 000000006FDC: D1010006 0001E506
	v_add_f32_e64 v7, v7, 1.0                                  // 000000006FE4: D1010007 0001E507
	v_rcp_f32_e32 v4, v4                                       // 000000006FEC: 7E084504
	v_rcp_f32_e32 v5, v5                                       // 000000006FF0: 7E0A4505
	v_rcp_f32_e32 v6, v6                                       // 000000006FF4: 7E0C4506
	v_rcp_f32_e32 v7, v7                                       // 000000006FF8: 7E0E4507
	v_mul_f32_e32 v80, v80, v4                                 // 000000006FFC: 0AA00950
	v_mul_f32_e32 v81, v81, v5                                 // 000000007000: 0AA20B51
	v_mul_f32_e32 v82, v82, v6                                 // 000000007004: 0AA40D52
	v_mul_f32_e32 v83, v83, v7                                 // 000000007008: 0AA60F53
	v_mul_f32_e32 v80, v80, v104                               // 00000000700C: 0AA0D150
	v_mul_f32_e32 v81, v81, v105                               // 000000007010: 0AA2D351
	v_mul_f32_e32 v82, v82, v106                               // 000000007014: 0AA4D552
	v_mul_f32_e32 v83, v83, v107                               // 000000007018: 0AA6D753
	v_pk_mul_f32 v[4:5], v[84:85], v[84:85]                    // 00000000701C: D3B14004 1802A954
	v_pk_mul_f32 v[6:7], v[86:87], v[86:87]                    // 000000007024: D3B14006 1802AD56
	v_pk_fma_f32 v[4:5], v[4:5], s[78:79], v[8:9]              // 00000000702C: D3B04004 1C209D04
	v_pk_fma_f32 v[6:7], v[6:7], s[78:79], v[8:9]              // 000000007034: D3B04006 1C209D06
	v_pk_mul_f32 v[4:5], v[4:5], v[84:85]                      // 00000000703C: D3B14004 1802A904
	v_pk_mul_f32 v[6:7], v[6:7], v[86:87]                      // 000000007044: D3B14006 1802AD06
	v_pk_mul_f32 v[4:5], v[4:5], s[60:61]                      // 00000000704C: D3B14004 18007904
	v_pk_mul_f32 v[6:7], v[6:7], s[60:61]                      // 000000007054: D3B14006 18007906
	v_exp_f32_e32 v4, v4                                       // 00000000705C: 7E084104
	v_exp_f32_e32 v5, v5                                       // 000000007060: 7E0A4105
	v_exp_f32_e32 v6, v6                                       // 000000007064: 7E0C4106
	v_exp_f32_e32 v7, v7                                       // 000000007068: 7E0E4107
	v_add_f32_e64 v4, v4, 1.0                                  // 00000000706C: D1010004 0001E504
	v_add_f32_e64 v5, v5, 1.0                                  // 000000007074: D1010005 0001E505
	v_add_f32_e64 v6, v6, 1.0                                  // 00000000707C: D1010006 0001E506
	v_add_f32_e64 v7, v7, 1.0                                  // 000000007084: D1010007 0001E507
	v_rcp_f32_e32 v4, v4                                       // 00000000708C: 7E084504
	v_rcp_f32_e32 v5, v5                                       // 000000007090: 7E0A4505
	v_rcp_f32_e32 v6, v6                                       // 000000007094: 7E0C4506
	v_rcp_f32_e32 v7, v7                                       // 000000007098: 7E0E4507
	v_mul_f32_e32 v84, v84, v4                                 // 00000000709C: 0AA80954
	v_mul_f32_e32 v85, v85, v5                                 // 0000000070A0: 0AAA0B55
	v_mul_f32_e32 v86, v86, v6                                 // 0000000070A4: 0AAC0D56
	v_mul_f32_e32 v87, v87, v7                                 // 0000000070A8: 0AAE0F57
	v_mul_f32_e32 v84, v84, v108                               // 0000000070AC: 0AA8D954
	v_mul_f32_e32 v85, v85, v109                               // 0000000070B0: 0AAADB55
	v_mul_f32_e32 v86, v86, v110                               // 0000000070B4: 0AACDD56
	v_mul_f32_e32 v87, v87, v111                               // 0000000070B8: 0AAEDF57
	v_pk_mul_f32 v[4:5], v[88:89], v[88:89]                    // 0000000070BC: D3B14004 1802B158
	v_pk_mul_f32 v[6:7], v[90:91], v[90:91]                    // 0000000070C4: D3B14006 1802B55A
	v_pk_fma_f32 v[4:5], v[4:5], s[78:79], v[8:9]              // 0000000070CC: D3B04004 1C209D04
	v_pk_fma_f32 v[6:7], v[6:7], s[78:79], v[8:9]              // 0000000070D4: D3B04006 1C209D06
	v_pk_mul_f32 v[4:5], v[4:5], v[88:89]                      // 0000000070DC: D3B14004 1802B104
	v_pk_mul_f32 v[6:7], v[6:7], v[90:91]                      // 0000000070E4: D3B14006 1802B506
	v_pk_mul_f32 v[4:5], v[4:5], s[60:61]                      // 0000000070EC: D3B14004 18007904
	v_pk_mul_f32 v[6:7], v[6:7], s[60:61]                      // 0000000070F4: D3B14006 18007906
	v_exp_f32_e32 v4, v4                                       // 0000000070FC: 7E084104
	v_exp_f32_e32 v5, v5                                       // 000000007100: 7E0A4105
	v_exp_f32_e32 v6, v6                                       // 000000007104: 7E0C4106
	v_exp_f32_e32 v7, v7                                       // 000000007108: 7E0E4107
	v_add_f32_e64 v4, v4, 1.0                                  // 00000000710C: D1010004 0001E504
	v_add_f32_e64 v5, v5, 1.0                                  // 000000007114: D1010005 0001E505
	v_add_f32_e64 v6, v6, 1.0                                  // 00000000711C: D1010006 0001E506
	v_add_f32_e64 v7, v7, 1.0                                  // 000000007124: D1010007 0001E507
	v_rcp_f32_e32 v4, v4                                       // 00000000712C: 7E084504
	v_rcp_f32_e32 v5, v5                                       // 000000007130: 7E0A4505
	v_rcp_f32_e32 v6, v6                                       // 000000007134: 7E0C4506
	v_rcp_f32_e32 v7, v7                                       // 000000007138: 7E0E4507
	v_mul_f32_e32 v88, v88, v4                                 // 00000000713C: 0AB00958
	v_mul_f32_e32 v89, v89, v5                                 // 000000007140: 0AB20B59
	v_mul_f32_e32 v90, v90, v6                                 // 000000007144: 0AB40D5A
	v_mul_f32_e32 v91, v91, v7                                 // 000000007148: 0AB60F5B
	v_mul_f32_e32 v88, v88, v112                               // 00000000714C: 0AB0E158
	v_mul_f32_e32 v89, v89, v113                               // 000000007150: 0AB2E359
	v_mul_f32_e32 v90, v90, v114                               // 000000007154: 0AB4E55A
	v_mul_f32_e32 v91, v91, v115                               // 000000007158: 0AB6E75B
	s_branch label_129B                                        // 00000000715C: BF8200C0

0000000000007160 <label_11DB>:
	v_mul_f32_e64 v4, -v68, s6                                 // 000000007160: D1050004 20000D44
	v_mul_f32_e64 v5, -v69, s6                                 // 000000007168: D1050005 20000D45
	v_mul_f32_e64 v6, -v70, s6                                 // 000000007170: D1050006 20000D46
	v_mul_f32_e64 v7, -v71, s6                                 // 000000007178: D1050007 20000D47
	v_exp_f32_e32 v4, v4                                       // 000000007180: 7E084104
	v_exp_f32_e32 v5, v5                                       // 000000007184: 7E0A4105
	v_exp_f32_e32 v6, v6                                       // 000000007188: 7E0C4106
	v_exp_f32_e32 v7, v7                                       // 00000000718C: 7E0E4107
	v_add_f32_e64 v4, v4, 1.0                                  // 000000007190: D1010004 0001E504
	v_add_f32_e64 v5, v5, 1.0                                  // 000000007198: D1010005 0001E505
	v_add_f32_e64 v6, v6, 1.0                                  // 0000000071A0: D1010006 0001E506
	v_add_f32_e64 v7, v7, 1.0                                  // 0000000071A8: D1010007 0001E507
	v_rcp_f32_e32 v4, v4                                       // 0000000071B0: 7E084504
	v_rcp_f32_e32 v5, v5                                       // 0000000071B4: 7E0A4505
	v_rcp_f32_e32 v6, v6                                       // 0000000071B8: 7E0C4506
	v_rcp_f32_e32 v7, v7                                       // 0000000071BC: 7E0E4507
	v_mul_f32_e32 v68, v68, v4                                 // 0000000071C0: 0A880944
	v_mul_f32_e32 v69, v69, v5                                 // 0000000071C4: 0A8A0B45
	v_mul_f32_e32 v70, v70, v6                                 // 0000000071C8: 0A8C0D46
	v_mul_f32_e32 v71, v71, v7                                 // 0000000071CC: 0A8E0F47
	v_mul_f32_e32 v68, v68, v92                                // 0000000071D0: 0A88B944
	v_mul_f32_e32 v69, v69, v93                                // 0000000071D4: 0A8ABB45
	v_mul_f32_e32 v70, v70, v94                                // 0000000071D8: 0A8CBD46
	v_mul_f32_e32 v71, v71, v95                                // 0000000071DC: 0A8EBF47
	v_mul_f32_e64 v4, -v72, s6                                 // 0000000071E0: D1050004 20000D48
	v_mul_f32_e64 v5, -v73, s6                                 // 0000000071E8: D1050005 20000D49
	v_mul_f32_e64 v6, -v74, s6                                 // 0000000071F0: D1050006 20000D4A
	v_mul_f32_e64 v7, -v75, s6                                 // 0000000071F8: D1050007 20000D4B
	v_exp_f32_e32 v4, v4                                       // 000000007200: 7E084104
	v_exp_f32_e32 v5, v5                                       // 000000007204: 7E0A4105
	v_exp_f32_e32 v6, v6                                       // 000000007208: 7E0C4106
	v_exp_f32_e32 v7, v7                                       // 00000000720C: 7E0E4107
	v_add_f32_e64 v4, v4, 1.0                                  // 000000007210: D1010004 0001E504
	v_add_f32_e64 v5, v5, 1.0                                  // 000000007218: D1010005 0001E505
	v_add_f32_e64 v6, v6, 1.0                                  // 000000007220: D1010006 0001E506
	v_add_f32_e64 v7, v7, 1.0                                  // 000000007228: D1010007 0001E507
	v_rcp_f32_e32 v4, v4                                       // 000000007230: 7E084504
	v_rcp_f32_e32 v5, v5                                       // 000000007234: 7E0A4505
	v_rcp_f32_e32 v6, v6                                       // 000000007238: 7E0C4506
	v_rcp_f32_e32 v7, v7                                       // 00000000723C: 7E0E4507
	v_mul_f32_e32 v72, v72, v4                                 // 000000007240: 0A900948
	v_mul_f32_e32 v73, v73, v5                                 // 000000007244: 0A920B49
	v_mul_f32_e32 v74, v74, v6                                 // 000000007248: 0A940D4A
	v_mul_f32_e32 v75, v75, v7                                 // 00000000724C: 0A960F4B
	v_mul_f32_e32 v72, v72, v96                                // 000000007250: 0A90C148
	v_mul_f32_e32 v73, v73, v97                                // 000000007254: 0A92C349
	v_mul_f32_e32 v74, v74, v98                                // 000000007258: 0A94C54A
	v_mul_f32_e32 v75, v75, v99                                // 00000000725C: 0A96C74B
	v_mul_f32_e64 v4, -v76, s6                                 // 000000007260: D1050004 20000D4C
	v_mul_f32_e64 v5, -v77, s6                                 // 000000007268: D1050005 20000D4D
	v_mul_f32_e64 v6, -v78, s6                                 // 000000007270: D1050006 20000D4E
	v_mul_f32_e64 v7, -v79, s6                                 // 000000007278: D1050007 20000D4F
	v_exp_f32_e32 v4, v4                                       // 000000007280: 7E084104
	v_exp_f32_e32 v5, v5                                       // 000000007284: 7E0A4105
	v_exp_f32_e32 v6, v6                                       // 000000007288: 7E0C4106
	v_exp_f32_e32 v7, v7                                       // 00000000728C: 7E0E4107
	v_add_f32_e64 v4, v4, 1.0                                  // 000000007290: D1010004 0001E504
	v_add_f32_e64 v5, v5, 1.0                                  // 000000007298: D1010005 0001E505
	v_add_f32_e64 v6, v6, 1.0                                  // 0000000072A0: D1010006 0001E506
	v_add_f32_e64 v7, v7, 1.0                                  // 0000000072A8: D1010007 0001E507
	v_rcp_f32_e32 v4, v4                                       // 0000000072B0: 7E084504
	v_rcp_f32_e32 v5, v5                                       // 0000000072B4: 7E0A4505
	v_rcp_f32_e32 v6, v6                                       // 0000000072B8: 7E0C4506
	v_rcp_f32_e32 v7, v7                                       // 0000000072BC: 7E0E4507
	v_mul_f32_e32 v76, v76, v4                                 // 0000000072C0: 0A98094C
	v_mul_f32_e32 v77, v77, v5                                 // 0000000072C4: 0A9A0B4D
	v_mul_f32_e32 v78, v78, v6                                 // 0000000072C8: 0A9C0D4E
	v_mul_f32_e32 v79, v79, v7                                 // 0000000072CC: 0A9E0F4F
	v_mul_f32_e32 v76, v76, v100                               // 0000000072D0: 0A98C94C
	v_mul_f32_e32 v77, v77, v101                               // 0000000072D4: 0A9ACB4D
	v_mul_f32_e32 v78, v78, v102                               // 0000000072D8: 0A9CCD4E
	v_mul_f32_e32 v79, v79, v103                               // 0000000072DC: 0A9ECF4F
	v_mul_f32_e64 v4, -v80, s6                                 // 0000000072E0: D1050004 20000D50
	v_mul_f32_e64 v5, -v81, s6                                 // 0000000072E8: D1050005 20000D51
	v_mul_f32_e64 v6, -v82, s6                                 // 0000000072F0: D1050006 20000D52
	v_mul_f32_e64 v7, -v83, s6                                 // 0000000072F8: D1050007 20000D53
	v_exp_f32_e32 v4, v4                                       // 000000007300: 7E084104
	v_exp_f32_e32 v5, v5                                       // 000000007304: 7E0A4105
	v_exp_f32_e32 v6, v6                                       // 000000007308: 7E0C4106
	v_exp_f32_e32 v7, v7                                       // 00000000730C: 7E0E4107
	v_add_f32_e64 v4, v4, 1.0                                  // 000000007310: D1010004 0001E504
	v_add_f32_e64 v5, v5, 1.0                                  // 000000007318: D1010005 0001E505
	v_add_f32_e64 v6, v6, 1.0                                  // 000000007320: D1010006 0001E506
	v_add_f32_e64 v7, v7, 1.0                                  // 000000007328: D1010007 0001E507
	v_rcp_f32_e32 v4, v4                                       // 000000007330: 7E084504
	v_rcp_f32_e32 v5, v5                                       // 000000007334: 7E0A4505
	v_rcp_f32_e32 v6, v6                                       // 000000007338: 7E0C4506
	v_rcp_f32_e32 v7, v7                                       // 00000000733C: 7E0E4507
	v_mul_f32_e32 v80, v80, v4                                 // 000000007340: 0AA00950
	v_mul_f32_e32 v81, v81, v5                                 // 000000007344: 0AA20B51
	v_mul_f32_e32 v82, v82, v6                                 // 000000007348: 0AA40D52
	v_mul_f32_e32 v83, v83, v7                                 // 00000000734C: 0AA60F53
	v_mul_f32_e32 v80, v80, v104                               // 000000007350: 0AA0D150
	v_mul_f32_e32 v81, v81, v105                               // 000000007354: 0AA2D351
	v_mul_f32_e32 v82, v82, v106                               // 000000007358: 0AA4D552
	v_mul_f32_e32 v83, v83, v107                               // 00000000735C: 0AA6D753
	v_mul_f32_e64 v4, -v84, s6                                 // 000000007360: D1050004 20000D54
	v_mul_f32_e64 v5, -v85, s6                                 // 000000007368: D1050005 20000D55
	v_mul_f32_e64 v6, -v86, s6                                 // 000000007370: D1050006 20000D56
	v_mul_f32_e64 v7, -v87, s6                                 // 000000007378: D1050007 20000D57
	v_exp_f32_e32 v4, v4                                       // 000000007380: 7E084104
	v_exp_f32_e32 v5, v5                                       // 000000007384: 7E0A4105
	v_exp_f32_e32 v6, v6                                       // 000000007388: 7E0C4106
	v_exp_f32_e32 v7, v7                                       // 00000000738C: 7E0E4107
	v_add_f32_e64 v4, v4, 1.0                                  // 000000007390: D1010004 0001E504
	v_add_f32_e64 v5, v5, 1.0                                  // 000000007398: D1010005 0001E505
	v_add_f32_e64 v6, v6, 1.0                                  // 0000000073A0: D1010006 0001E506
	v_add_f32_e64 v7, v7, 1.0                                  // 0000000073A8: D1010007 0001E507
	v_rcp_f32_e32 v4, v4                                       // 0000000073B0: 7E084504
	v_rcp_f32_e32 v5, v5                                       // 0000000073B4: 7E0A4505
	v_rcp_f32_e32 v6, v6                                       // 0000000073B8: 7E0C4506
	v_rcp_f32_e32 v7, v7                                       // 0000000073BC: 7E0E4507
	v_mul_f32_e32 v84, v84, v4                                 // 0000000073C0: 0AA80954
	v_mul_f32_e32 v85, v85, v5                                 // 0000000073C4: 0AAA0B55
	v_mul_f32_e32 v86, v86, v6                                 // 0000000073C8: 0AAC0D56
	v_mul_f32_e32 v87, v87, v7                                 // 0000000073CC: 0AAE0F57
	v_mul_f32_e32 v84, v84, v108                               // 0000000073D0: 0AA8D954
	v_mul_f32_e32 v85, v85, v109                               // 0000000073D4: 0AAADB55
	v_mul_f32_e32 v86, v86, v110                               // 0000000073D8: 0AACDD56
	v_mul_f32_e32 v87, v87, v111                               // 0000000073DC: 0AAEDF57
	v_mul_f32_e64 v4, -v88, s6                                 // 0000000073E0: D1050004 20000D58
	v_mul_f32_e64 v5, -v89, s6                                 // 0000000073E8: D1050005 20000D59
	v_mul_f32_e64 v6, -v90, s6                                 // 0000000073F0: D1050006 20000D5A
	v_mul_f32_e64 v7, -v91, s6                                 // 0000000073F8: D1050007 20000D5B
	v_exp_f32_e32 v4, v4                                       // 000000007400: 7E084104
	v_exp_f32_e32 v5, v5                                       // 000000007404: 7E0A4105
	v_exp_f32_e32 v6, v6                                       // 000000007408: 7E0C4106
	v_exp_f32_e32 v7, v7                                       // 00000000740C: 7E0E4107
	v_add_f32_e64 v4, v4, 1.0                                  // 000000007410: D1010004 0001E504
	v_add_f32_e64 v5, v5, 1.0                                  // 000000007418: D1010005 0001E505
	v_add_f32_e64 v6, v6, 1.0                                  // 000000007420: D1010006 0001E506
	v_add_f32_e64 v7, v7, 1.0                                  // 000000007428: D1010007 0001E507
	v_rcp_f32_e32 v4, v4                                       // 000000007430: 7E084504
	v_rcp_f32_e32 v5, v5                                       // 000000007434: 7E0A4505
	v_rcp_f32_e32 v6, v6                                       // 000000007438: 7E0C4506
	v_rcp_f32_e32 v7, v7                                       // 00000000743C: 7E0E4507
	v_mul_f32_e32 v88, v88, v4                                 // 000000007440: 0AB00958
	v_mul_f32_e32 v89, v89, v5                                 // 000000007444: 0AB20B59
	v_mul_f32_e32 v90, v90, v6                                 // 000000007448: 0AB40D5A
	v_mul_f32_e32 v91, v91, v7                                 // 00000000744C: 0AB60F5B
	v_mul_f32_e32 v88, v88, v112                               // 000000007450: 0AB0E158
	v_mul_f32_e32 v89, v89, v113                               // 000000007454: 0AB2E359
	v_mul_f32_e32 v90, v90, v114                               // 000000007458: 0AB4E55A
	v_mul_f32_e32 v91, v91, v115                               // 00000000745C: 0AB6E75B

0000000000007460 <label_129B>:
	v_cmp_u_f32_e64 s[46:47], v68, v68                         // 000000007460: D048002E 00028944
	v_add3_u32 v16, v68, v19, 1                                // 000000007468: D1FF0010 02062744
	v_cndmask_b32_e64 v4, v16, v18, s[46:47]                   // 000000007470: D1000004 00BA2510
	v_cmp_u_f32_e64 s[46:47], v69, v69                         // 000000007478: D048002E 00028B45
	v_add3_u32 v16, v69, v19, 1                                // 000000007480: D1FF0010 02062745
	v_cndmask_b32_e64 v5, v16, v18, s[46:47]                   // 000000007488: D1000005 00BA2510
	v_perm_b32 v68, v5, v4, s52                                // 000000007490: D1ED0044 00D20905
	v_cmp_u_f32_e64 s[46:47], v70, v70                         // 000000007498: D048002E 00028D46
	v_add3_u32 v16, v70, v19, 1                                // 0000000074A0: D1FF0010 02062746
	v_cndmask_b32_e64 v4, v16, v18, s[46:47]                   // 0000000074A8: D1000004 00BA2510
	v_cmp_u_f32_e64 s[46:47], v71, v71                         // 0000000074B0: D048002E 00028F47
	v_add3_u32 v16, v71, v19, 1                                // 0000000074B8: D1FF0010 02062747
	v_cndmask_b32_e64 v5, v16, v18, s[46:47]                   // 0000000074C0: D1000005 00BA2510
	v_perm_b32 v69, v5, v4, s52                                // 0000000074C8: D1ED0045 00D20905
	v_cmp_u_f32_e64 s[46:47], v72, v72                         // 0000000074D0: D048002E 00029148
	v_add3_u32 v16, v72, v19, 1                                // 0000000074D8: D1FF0010 02062748
	v_cndmask_b32_e64 v4, v16, v18, s[46:47]                   // 0000000074E0: D1000004 00BA2510
	v_cmp_u_f32_e64 s[46:47], v73, v73                         // 0000000074E8: D048002E 00029349
	v_add3_u32 v16, v73, v19, 1                                // 0000000074F0: D1FF0010 02062749
	v_cndmask_b32_e64 v5, v16, v18, s[46:47]                   // 0000000074F8: D1000005 00BA2510
	v_perm_b32 v70, v5, v4, s52                                // 000000007500: D1ED0046 00D20905
	v_cmp_u_f32_e64 s[46:47], v74, v74                         // 000000007508: D048002E 0002954A
	v_add3_u32 v16, v74, v19, 1                                // 000000007510: D1FF0010 0206274A
	v_cndmask_b32_e64 v4, v16, v18, s[46:47]                   // 000000007518: D1000004 00BA2510
	v_cmp_u_f32_e64 s[46:47], v75, v75                         // 000000007520: D048002E 0002974B
	v_add3_u32 v16, v75, v19, 1                                // 000000007528: D1FF0010 0206274B
	v_cndmask_b32_e64 v5, v16, v18, s[46:47]                   // 000000007530: D1000005 00BA2510
	v_perm_b32 v71, v5, v4, s52                                // 000000007538: D1ED0047 00D20905
	v_cmp_u_f32_e64 s[46:47], v76, v76                         // 000000007540: D048002E 0002994C
	v_add3_u32 v16, v76, v19, 1                                // 000000007548: D1FF0010 0206274C
	v_cndmask_b32_e64 v4, v16, v18, s[46:47]                   // 000000007550: D1000004 00BA2510
	v_cmp_u_f32_e64 s[46:47], v77, v77                         // 000000007558: D048002E 00029B4D
	v_add3_u32 v16, v77, v19, 1                                // 000000007560: D1FF0010 0206274D
	v_cndmask_b32_e64 v5, v16, v18, s[46:47]                   // 000000007568: D1000005 00BA2510
	v_perm_b32 v72, v5, v4, s52                                // 000000007570: D1ED0048 00D20905
	v_cmp_u_f32_e64 s[46:47], v78, v78                         // 000000007578: D048002E 00029D4E
	v_add3_u32 v16, v78, v19, 1                                // 000000007580: D1FF0010 0206274E
	v_cndmask_b32_e64 v4, v16, v18, s[46:47]                   // 000000007588: D1000004 00BA2510
	v_cmp_u_f32_e64 s[46:47], v79, v79                         // 000000007590: D048002E 00029F4F
	v_add3_u32 v16, v79, v19, 1                                // 000000007598: D1FF0010 0206274F
	v_cndmask_b32_e64 v5, v16, v18, s[46:47]                   // 0000000075A0: D1000005 00BA2510
	v_perm_b32 v73, v5, v4, s52                                // 0000000075A8: D1ED0049 00D20905
	v_cmp_u_f32_e64 s[46:47], v80, v80                         // 0000000075B0: D048002E 0002A150
	v_add3_u32 v16, v80, v19, 1                                // 0000000075B8: D1FF0010 02062750
	v_cndmask_b32_e64 v4, v16, v18, s[46:47]                   // 0000000075C0: D1000004 00BA2510
	v_cmp_u_f32_e64 s[46:47], v81, v81                         // 0000000075C8: D048002E 0002A351
	v_add3_u32 v16, v81, v19, 1                                // 0000000075D0: D1FF0010 02062751
	v_cndmask_b32_e64 v5, v16, v18, s[46:47]                   // 0000000075D8: D1000005 00BA2510
	v_perm_b32 v74, v5, v4, s52                                // 0000000075E0: D1ED004A 00D20905
	v_cmp_u_f32_e64 s[46:47], v82, v82                         // 0000000075E8: D048002E 0002A552
	v_add3_u32 v16, v82, v19, 1                                // 0000000075F0: D1FF0010 02062752
	v_cndmask_b32_e64 v4, v16, v18, s[46:47]                   // 0000000075F8: D1000004 00BA2510
	v_cmp_u_f32_e64 s[46:47], v83, v83                         // 000000007600: D048002E 0002A753
	v_add3_u32 v16, v83, v19, 1                                // 000000007608: D1FF0010 02062753
	v_cndmask_b32_e64 v5, v16, v18, s[46:47]                   // 000000007610: D1000005 00BA2510
	v_perm_b32 v75, v5, v4, s52                                // 000000007618: D1ED004B 00D20905
	v_cmp_u_f32_e64 s[46:47], v84, v84                         // 000000007620: D048002E 0002A954
	v_add3_u32 v16, v84, v19, 1                                // 000000007628: D1FF0010 02062754
	v_cndmask_b32_e64 v4, v16, v18, s[46:47]                   // 000000007630: D1000004 00BA2510
	v_cmp_u_f32_e64 s[46:47], v85, v85                         // 000000007638: D048002E 0002AB55
	v_add3_u32 v16, v85, v19, 1                                // 000000007640: D1FF0010 02062755
	v_cndmask_b32_e64 v5, v16, v18, s[46:47]                   // 000000007648: D1000005 00BA2510
	v_perm_b32 v76, v5, v4, s52                                // 000000007650: D1ED004C 00D20905
	v_cmp_u_f32_e64 s[46:47], v86, v86                         // 000000007658: D048002E 0002AD56
	v_add3_u32 v16, v86, v19, 1                                // 000000007660: D1FF0010 02062756
	v_cndmask_b32_e64 v4, v16, v18, s[46:47]                   // 000000007668: D1000004 00BA2510
	v_cmp_u_f32_e64 s[46:47], v87, v87                         // 000000007670: D048002E 0002AF57
	v_add3_u32 v16, v87, v19, 1                                // 000000007678: D1FF0010 02062757
	v_cndmask_b32_e64 v5, v16, v18, s[46:47]                   // 000000007680: D1000005 00BA2510
	v_perm_b32 v77, v5, v4, s52                                // 000000007688: D1ED004D 00D20905
	v_cmp_u_f32_e64 s[46:47], v88, v88                         // 000000007690: D048002E 0002B158
	v_add3_u32 v16, v88, v19, 1                                // 000000007698: D1FF0010 02062758
	v_cndmask_b32_e64 v4, v16, v18, s[46:47]                   // 0000000076A0: D1000004 00BA2510
	v_cmp_u_f32_e64 s[46:47], v89, v89                         // 0000000076A8: D048002E 0002B359
	v_add3_u32 v16, v89, v19, 1                                // 0000000076B0: D1FF0010 02062759
	v_cndmask_b32_e64 v5, v16, v18, s[46:47]                   // 0000000076B8: D1000005 00BA2510
	v_perm_b32 v78, v5, v4, s52                                // 0000000076C0: D1ED004E 00D20905
	v_cmp_u_f32_e64 s[46:47], v90, v90                         // 0000000076C8: D048002E 0002B55A
	v_add3_u32 v16, v90, v19, 1                                // 0000000076D0: D1FF0010 0206275A
	v_cndmask_b32_e64 v4, v16, v18, s[46:47]                   // 0000000076D8: D1000004 00BA2510
	v_cmp_u_f32_e64 s[46:47], v91, v91                         // 0000000076E0: D048002E 0002B75B
	v_add3_u32 v16, v91, v19, 1                                // 0000000076E8: D1FF0010 0206275B
	v_cndmask_b32_e64 v5, v16, v18, s[46:47]                   // 0000000076F0: D1000005 00BA2510
	v_perm_b32 v79, v5, v4, s52                                // 0000000076F8: D1ED004F 00D20905
	ds_write_b64 v20, v[68:69]                                 // 000000007700: D89A0000 00004414
	ds_write_b64 v20, v[70:71] offset:2176                     // 000000007708: D89A0880 00004614
	ds_write_b64 v20, v[72:73] offset:4352                     // 000000007710: D89A1100 00004814
	ds_write_b64 v20, v[74:75] offset:6528                     // 000000007718: D89A1980 00004A14
	ds_write_b64 v20, v[76:77] offset:8704                     // 000000007720: D89A2200 00004C14
	ds_write_b64 v20, v[78:79] offset:10880                    // 000000007728: D89A2A80 00004E14
	v_lshrrev_b32_e32 v4, 5, v0                                // 000000007730: 20080085
	v_xor_b32_e32 v5, 1, v4                                    // 000000007734: 2A0A0881
	s_mul_i32 s60, s65, 2                                      // 000000007738: 923C8241
	s_cmp_eq_u32 s88, 0                                        // 00000000773C: BF068058
	s_cselect_b32 s61, 1, 4                                    // 000000007740: 853D8481
	s_mul_i32 s60, s61, s60                                    // 000000007744: 923C3C3D
	v_readlane_b32 s82, v3, 0                                  // 000000007748: D2890052 00010103
	s_lshr_b32 s61, s82, 24                                    // 000000007750: 8F3D9852
	s_and_b32 s82, s82, 0xffffff                               // 000000007754: 8652FF52 00FFFFFF
	s_mul_i32 s82, s82, s71                                    // 00000000775C: 92524752
	s_mul_i32 s61, s60, s61                                    // 000000007760: 923D3D3C
	s_add_u32 s82, s82, s61                                    // 000000007764: 80523D52
	v_mul_lo_u32 v6, v5, s82                                   // 000000007768: D2850006 0000A505
	v_readlane_b32 s82, v3, 1                                  // 000000007770: D2890052 00010303
	s_lshr_b32 s61, s82, 24                                    // 000000007778: 8F3D9852
	s_and_b32 s82, s82, 0xffffff                               // 00000000777C: 8652FF52 00FFFFFF
	s_mul_i32 s82, s82, s71                                    // 000000007784: 92524752
	s_mul_i32 s61, s60, s61                                    // 000000007788: 923D3D3C
	s_add_u32 s82, s82, s61                                    // 00000000778C: 80523D52
	v_mul_lo_u32 v7, v4, s82                                   // 000000007790: D2850007 0000A504
	v_add_u32_e32 v52, v6, v7                                  // 000000007798: 68680F06
	v_readlane_b32 s82, v3, 2                                  // 00000000779C: D2890052 00010503
	s_lshr_b32 s61, s82, 24                                    // 0000000077A4: 8F3D9852
	s_and_b32 s82, s82, 0xffffff                               // 0000000077A8: 8652FF52 00FFFFFF
	s_mul_i32 s82, s82, s71                                    // 0000000077B0: 92524752
	s_mul_i32 s61, s60, s61                                    // 0000000077B4: 923D3D3C
	s_add_u32 s82, s82, s61                                    // 0000000077B8: 80523D52
	v_mul_lo_u32 v6, v5, s82                                   // 0000000077BC: D2850006 0000A505
	v_readlane_b32 s82, v3, 3                                  // 0000000077C4: D2890052 00010703
	s_lshr_b32 s61, s82, 24                                    // 0000000077CC: 8F3D9852
	s_and_b32 s82, s82, 0xffffff                               // 0000000077D0: 8652FF52 00FFFFFF
	s_mul_i32 s82, s82, s71                                    // 0000000077D8: 92524752
	s_mul_i32 s61, s60, s61                                    // 0000000077DC: 923D3D3C
	s_add_u32 s82, s82, s61                                    // 0000000077E0: 80523D52
	v_mul_lo_u32 v7, v4, s82                                   // 0000000077E4: D2850007 0000A504
	v_add_u32_e32 v53, v6, v7                                  // 0000000077EC: 686A0F06
	v_readlane_b32 s82, v3, 4                                  // 0000000077F0: D2890052 00010903
	s_lshr_b32 s61, s82, 24                                    // 0000000077F8: 8F3D9852
	s_and_b32 s82, s82, 0xffffff                               // 0000000077FC: 8652FF52 00FFFFFF
	s_mul_i32 s82, s82, s71                                    // 000000007804: 92524752
	s_mul_i32 s61, s60, s61                                    // 000000007808: 923D3D3C
	s_add_u32 s82, s82, s61                                    // 00000000780C: 80523D52
	v_mul_lo_u32 v6, v5, s82                                   // 000000007810: D2850006 0000A505
	v_readlane_b32 s82, v3, 5                                  // 000000007818: D2890052 00010B03
	s_lshr_b32 s61, s82, 24                                    // 000000007820: 8F3D9852
	s_and_b32 s82, s82, 0xffffff                               // 000000007824: 8652FF52 00FFFFFF
	s_mul_i32 s82, s82, s71                                    // 00000000782C: 92524752
	s_mul_i32 s61, s60, s61                                    // 000000007830: 923D3D3C
	s_add_u32 s82, s82, s61                                    // 000000007834: 80523D52
	v_mul_lo_u32 v7, v4, s82                                   // 000000007838: D2850007 0000A504
	v_add_u32_e32 v54, v6, v7                                  // 000000007840: 686C0F06
	v_readlane_b32 s82, v3, 6                                  // 000000007844: D2890052 00010D03
	s_lshr_b32 s61, s82, 24                                    // 00000000784C: 8F3D9852
	s_and_b32 s82, s82, 0xffffff                               // 000000007850: 8652FF52 00FFFFFF
	s_mul_i32 s82, s82, s71                                    // 000000007858: 92524752
	s_mul_i32 s61, s60, s61                                    // 00000000785C: 923D3D3C
	s_add_u32 s82, s82, s61                                    // 000000007860: 80523D52
	v_mul_lo_u32 v6, v5, s82                                   // 000000007864: D2850006 0000A505
	v_readlane_b32 s82, v3, 7                                  // 00000000786C: D2890052 00010F03
	s_lshr_b32 s61, s82, 24                                    // 000000007874: 8F3D9852
	s_and_b32 s82, s82, 0xffffff                               // 000000007878: 8652FF52 00FFFFFF
	s_mul_i32 s82, s82, s71                                    // 000000007880: 92524752
	s_mul_i32 s61, s60, s61                                    // 000000007884: 923D3D3C
	s_add_u32 s82, s82, s61                                    // 000000007888: 80523D52
	v_mul_lo_u32 v7, v4, s82                                   // 00000000788C: D2850007 0000A504
	v_add_u32_e32 v55, v6, v7                                  // 000000007894: 686E0F06
	v_readlane_b32 s82, v3, 8                                  // 000000007898: D2890052 00011103
	s_lshr_b32 s61, s82, 24                                    // 0000000078A0: 8F3D9852
	s_and_b32 s82, s82, 0xffffff                               // 0000000078A4: 8652FF52 00FFFFFF
	s_mul_i32 s82, s82, s71                                    // 0000000078AC: 92524752
	s_mul_i32 s61, s60, s61                                    // 0000000078B0: 923D3D3C
	s_add_u32 s82, s82, s61                                    // 0000000078B4: 80523D52
	v_mul_lo_u32 v6, v5, s82                                   // 0000000078B8: D2850006 0000A505
	v_readlane_b32 s82, v3, 9                                  // 0000000078C0: D2890052 00011303
	s_lshr_b32 s61, s82, 24                                    // 0000000078C8: 8F3D9852
	s_and_b32 s82, s82, 0xffffff                               // 0000000078CC: 8652FF52 00FFFFFF
	s_mul_i32 s82, s82, s71                                    // 0000000078D4: 92524752
	s_mul_i32 s61, s60, s61                                    // 0000000078D8: 923D3D3C
	s_add_u32 s82, s82, s61                                    // 0000000078DC: 80523D52
	v_mul_lo_u32 v7, v4, s82                                   // 0000000078E0: D2850007 0000A504
	v_add_u32_e32 v56, v6, v7                                  // 0000000078E8: 68700F06
	v_readlane_b32 s82, v3, 10                                 // 0000000078EC: D2890052 00011503
	s_lshr_b32 s61, s82, 24                                    // 0000000078F4: 8F3D9852
	s_and_b32 s82, s82, 0xffffff                               // 0000000078F8: 8652FF52 00FFFFFF
	s_mul_i32 s82, s82, s71                                    // 000000007900: 92524752
	s_mul_i32 s61, s60, s61                                    // 000000007904: 923D3D3C
	s_add_u32 s82, s82, s61                                    // 000000007908: 80523D52
	v_mul_lo_u32 v6, v5, s82                                   // 00000000790C: D2850006 0000A505
	v_readlane_b32 s82, v3, 11                                 // 000000007914: D2890052 00011703
	s_lshr_b32 s61, s82, 24                                    // 00000000791C: 8F3D9852
	s_and_b32 s82, s82, 0xffffff                               // 000000007920: 8652FF52 00FFFFFF
	s_mul_i32 s82, s82, s71                                    // 000000007928: 92524752
	s_mul_i32 s61, s60, s61                                    // 00000000792C: 923D3D3C
	s_add_u32 s82, s82, s61                                    // 000000007930: 80523D52
	v_mul_lo_u32 v7, v4, s82                                   // 000000007934: D2850007 0000A504
	v_add_u32_e32 v57, v6, v7                                  // 00000000793C: 68720F06
	v_readlane_b32 s82, v3, 12                                 // 000000007940: D2890052 00011903
	s_lshr_b32 s61, s82, 24                                    // 000000007948: 8F3D9852
	s_and_b32 s82, s82, 0xffffff                               // 00000000794C: 8652FF52 00FFFFFF
	s_mul_i32 s82, s82, s71                                    // 000000007954: 92524752
	s_mul_i32 s61, s60, s61                                    // 000000007958: 923D3D3C
	s_add_u32 s82, s82, s61                                    // 00000000795C: 80523D52
	v_mul_lo_u32 v6, v5, s82                                   // 000000007960: D2850006 0000A505
	v_readlane_b32 s82, v3, 13                                 // 000000007968: D2890052 00011B03
	s_lshr_b32 s61, s82, 24                                    // 000000007970: 8F3D9852
	s_and_b32 s82, s82, 0xffffff                               // 000000007974: 8652FF52 00FFFFFF
	s_mul_i32 s82, s82, s71                                    // 00000000797C: 92524752
	s_mul_i32 s61, s60, s61                                    // 000000007980: 923D3D3C
	s_add_u32 s82, s82, s61                                    // 000000007984: 80523D52
	v_mul_lo_u32 v7, v4, s82                                   // 000000007988: D2850007 0000A504
	v_add_u32_e32 v58, v6, v7                                  // 000000007990: 68740F06
	v_readlane_b32 s82, v3, 14                                 // 000000007994: D2890052 00011D03
	s_lshr_b32 s61, s82, 24                                    // 00000000799C: 8F3D9852
	s_and_b32 s82, s82, 0xffffff                               // 0000000079A0: 8652FF52 00FFFFFF
	s_mul_i32 s82, s82, s71                                    // 0000000079A8: 92524752
	s_mul_i32 s61, s60, s61                                    // 0000000079AC: 923D3D3C
	s_add_u32 s82, s82, s61                                    // 0000000079B0: 80523D52
	v_mul_lo_u32 v6, v5, s82                                   // 0000000079B4: D2850006 0000A505
	v_readlane_b32 s82, v3, 15                                 // 0000000079BC: D2890052 00011F03
	s_lshr_b32 s61, s82, 24                                    // 0000000079C4: 8F3D9852
	s_and_b32 s82, s82, 0xffffff                               // 0000000079C8: 8652FF52 00FFFFFF
	s_mul_i32 s82, s82, s71                                    // 0000000079D0: 92524752
	s_mul_i32 s61, s60, s61                                    // 0000000079D4: 923D3D3C
	s_add_u32 s82, s82, s61                                    // 0000000079D8: 80523D52
	v_mul_lo_u32 v7, v4, s82                                   // 0000000079DC: D2850007 0000A504
	v_add_u32_e32 v59, v6, v7                                  // 0000000079E4: 68760F06
	v_readlane_b32 s82, v3, 16                                 // 0000000079E8: D2890052 00012103
	s_lshr_b32 s61, s82, 24                                    // 0000000079F0: 8F3D9852
	s_and_b32 s82, s82, 0xffffff                               // 0000000079F4: 8652FF52 00FFFFFF
	s_mul_i32 s82, s82, s71                                    // 0000000079FC: 92524752
	s_mul_i32 s61, s60, s61                                    // 000000007A00: 923D3D3C
	s_add_u32 s82, s82, s61                                    // 000000007A04: 80523D52
	v_mul_lo_u32 v6, v5, s82                                   // 000000007A08: D2850006 0000A505
	v_readlane_b32 s82, v3, 17                                 // 000000007A10: D2890052 00012303
	s_lshr_b32 s61, s82, 24                                    // 000000007A18: 8F3D9852
	s_and_b32 s82, s82, 0xffffff                               // 000000007A1C: 8652FF52 00FFFFFF
	s_mul_i32 s82, s82, s71                                    // 000000007A24: 92524752
	s_mul_i32 s61, s60, s61                                    // 000000007A28: 923D3D3C
	s_add_u32 s82, s82, s61                                    // 000000007A2C: 80523D52
	v_mul_lo_u32 v7, v4, s82                                   // 000000007A30: D2850007 0000A504
	v_add_u32_e32 v60, v6, v7                                  // 000000007A38: 68780F06
	v_readlane_b32 s82, v3, 18                                 // 000000007A3C: D2890052 00012503
	s_lshr_b32 s61, s82, 24                                    // 000000007A44: 8F3D9852
	s_and_b32 s82, s82, 0xffffff                               // 000000007A48: 8652FF52 00FFFFFF
	s_mul_i32 s82, s82, s71                                    // 000000007A50: 92524752
	s_mul_i32 s61, s60, s61                                    // 000000007A54: 923D3D3C
	s_add_u32 s82, s82, s61                                    // 000000007A58: 80523D52
	v_mul_lo_u32 v6, v5, s82                                   // 000000007A5C: D2850006 0000A505
	v_readlane_b32 s82, v3, 19                                 // 000000007A64: D2890052 00012703
	s_lshr_b32 s61, s82, 24                                    // 000000007A6C: 8F3D9852
	s_and_b32 s82, s82, 0xffffff                               // 000000007A70: 8652FF52 00FFFFFF
	s_mul_i32 s82, s82, s71                                    // 000000007A78: 92524752
	s_mul_i32 s61, s60, s61                                    // 000000007A7C: 923D3D3C
	s_add_u32 s82, s82, s61                                    // 000000007A80: 80523D52
	v_mul_lo_u32 v7, v4, s82                                   // 000000007A84: D2850007 0000A504
	v_add_u32_e32 v61, v6, v7                                  // 000000007A8C: 687A0F06
	v_readlane_b32 s82, v3, 20                                 // 000000007A90: D2890052 00012903
	s_lshr_b32 s61, s82, 24                                    // 000000007A98: 8F3D9852
	s_and_b32 s82, s82, 0xffffff                               // 000000007A9C: 8652FF52 00FFFFFF
	s_mul_i32 s82, s82, s71                                    // 000000007AA4: 92524752
	s_mul_i32 s61, s60, s61                                    // 000000007AA8: 923D3D3C
	s_add_u32 s82, s82, s61                                    // 000000007AAC: 80523D52
	v_mul_lo_u32 v6, v5, s82                                   // 000000007AB0: D2850006 0000A505
	v_readlane_b32 s82, v3, 21                                 // 000000007AB8: D2890052 00012B03
	s_lshr_b32 s61, s82, 24                                    // 000000007AC0: 8F3D9852
	s_and_b32 s82, s82, 0xffffff                               // 000000007AC4: 8652FF52 00FFFFFF
	s_mul_i32 s82, s82, s71                                    // 000000007ACC: 92524752
	s_mul_i32 s61, s60, s61                                    // 000000007AD0: 923D3D3C
	s_add_u32 s82, s82, s61                                    // 000000007AD4: 80523D52
	v_mul_lo_u32 v7, v4, s82                                   // 000000007AD8: D2850007 0000A504
	v_add_u32_e32 v62, v6, v7                                  // 000000007AE0: 687C0F06
	v_readlane_b32 s82, v3, 22                                 // 000000007AE4: D2890052 00012D03
	s_lshr_b32 s61, s82, 24                                    // 000000007AEC: 8F3D9852
	s_and_b32 s82, s82, 0xffffff                               // 000000007AF0: 8652FF52 00FFFFFF
	s_mul_i32 s82, s82, s71                                    // 000000007AF8: 92524752
	s_mul_i32 s61, s60, s61                                    // 000000007AFC: 923D3D3C
	s_add_u32 s82, s82, s61                                    // 000000007B00: 80523D52
	v_mul_lo_u32 v6, v5, s82                                   // 000000007B04: D2850006 0000A505
	v_readlane_b32 s82, v3, 23                                 // 000000007B0C: D2890052 00012F03
	s_lshr_b32 s61, s82, 24                                    // 000000007B14: 8F3D9852
	s_and_b32 s82, s82, 0xffffff                               // 000000007B18: 8652FF52 00FFFFFF
	s_mul_i32 s82, s82, s71                                    // 000000007B20: 92524752
	s_mul_i32 s61, s60, s61                                    // 000000007B24: 923D3D3C
	s_add_u32 s82, s82, s61                                    // 000000007B28: 80523D52
	v_mul_lo_u32 v7, v4, s82                                   // 000000007B2C: D2850007 0000A504
	v_add_u32_e32 v63, v6, v7                                  // 000000007B34: 687E0F06
	v_and_b32_e32 v4, 31, v0                                   // 000000007B38: 2608009F
	v_lshrrev_b32_e32 v4, 1, v4                                // 000000007B3C: 20080881
	s_cmp_eq_u32 s88, 0                                        // 000000007B40: BF068058
	s_cselect_b32 s61, 2, 4                                    // 000000007B44: 853D8482
	v_mul_lo_u32 v4, v4, s61                                   // 000000007B48: D2850004 00007B04
	v_and_b32_e64 v5, v0, 1                                    // 000000007B50: D1130005 00010300
	v_add_u32_e32 v4, v4, v5                                   // 000000007B58: 68080B04
	v_lshlrev_b32_e32 v4, 2, v4                                // 000000007B5C: 24080882
	v_add_u32_e32 v52, v52, v4                                 // 000000007B60: 68680934
	v_add_u32_e32 v53, v53, v4                                 // 000000007B64: 686A0935
	v_add_u32_e32 v54, v54, v4                                 // 000000007B68: 686C0936
	v_add_u32_e32 v55, v55, v4                                 // 000000007B6C: 686E0937
	v_add_u32_e32 v56, v56, v4                                 // 000000007B70: 68700938
	v_add_u32_e32 v57, v57, v4                                 // 000000007B74: 68720939
	v_add_u32_e32 v58, v58, v4                                 // 000000007B78: 6874093A
	v_add_u32_e32 v59, v59, v4                                 // 000000007B7C: 6876093B
	v_add_u32_e32 v60, v60, v4                                 // 000000007B80: 6878093C
	v_add_u32_e32 v61, v61, v4                                 // 000000007B84: 687A093D
	v_add_u32_e32 v62, v62, v4                                 // 000000007B88: 687C093E
	v_add_u32_e32 v63, v63, v4                                 // 000000007B8C: 687E093F
	s_waitcnt lgkmcnt(0)                                       // 000000007B90: BF8CC07F
	s_barrier                                                  // 000000007B94: BF8A0000
	ds_read_b32 v68, v21                                       // 000000007B98: D86C0000 44000015
	ds_read_b32 v69, v21 offset:64                             // 000000007BA0: D86C0040 45000015
	ds_read_b32 v70, v21 offset:2176                           // 000000007BA8: D86C0880 46000015
	ds_read_b32 v71, v21 offset:2240                           // 000000007BB0: D86C08C0 47000015
	ds_read_b32 v72, v21 offset:4352                           // 000000007BB8: D86C1100 48000015
	ds_read_b32 v73, v21 offset:4416                           // 000000007BC0: D86C1140 49000015
	ds_read_b32 v74, v21 offset:6528                           // 000000007BC8: D86C1980 4A000015
	ds_read_b32 v75, v21 offset:6592                           // 000000007BD0: D86C19C0 4B000015
	ds_read_b32 v76, v21 offset:8704                           // 000000007BD8: D86C2200 4C000015
	ds_read_b32 v77, v21 offset:8768                           // 000000007BE0: D86C2240 4D000015
	ds_read_b32 v78, v21 offset:10880                          // 000000007BE8: D86C2A80 4E000015
	ds_read_b32 v79, v21 offset:10944                          // 000000007BF0: D86C2AC0 4F000015
	s_waitcnt lgkmcnt(0)                                       // 000000007BF8: BF8CC07F
	s_mov_b32 s36, -1                                          // 000000007BFC: BEA400C1
	s_mov_b32 s37, -1                                          // 000000007C00: BEA500C1
	v_mov_b32_e32 v7, 0                                        // 000000007C04: 7E0E0280
	s_or_b32 s9, s9, 0x40000                                   // 000000007C08: 8709FF09 00040000
	s_mov_b64 exec, s[36:37]                                   // 000000007C10: BEFE0124
	v_mov_b32_e32 v6, v52                                      // 000000007C14: 7E0C0334
	s_mov_b64 s[60:61], 0                                      // 000000007C18: BEBC0180
	v_readlane_b32 s82, v3, 0                                  // 000000007C1C: D2890052 00010103
	s_and_b32 s82, s82, 0xffffff                               // 000000007C24: 8652FF52 00FFFFFF
	s_cmp_lt_u32 s82, s66                                      // 000000007C2C: BF0A4252
	s_cselect_b32 s20, s36, s60                                // 000000007C30: 85143C24
	v_readlane_b32 s82, v3, 1                                  // 000000007C34: D2890052 00010303
	s_and_b32 s82, s82, 0xffffff                               // 000000007C3C: 8652FF52 00FFFFFF
	s_cmp_lt_u32 s82, s66                                      // 000000007C44: BF0A4252
	s_cselect_b32 s21, s36, s60                                // 000000007C48: 85153C24
	s_mov_b64 exec, s[20:21]                                   // 000000007C4C: BEFE0114
	buffer_store_dword v68, v6, s[8:11], 0 offen               // 000000007C50: E0701000 80024406
	s_mov_b64 exec, s[36:37]                                   // 000000007C58: BEFE0124
	v_mov_b32_e32 v6, v53                                      // 000000007C5C: 7E0C0335
	s_mov_b64 s[60:61], 0                                      // 000000007C60: BEBC0180
	v_readlane_b32 s82, v3, 2                                  // 000000007C64: D2890052 00010503
	s_and_b32 s82, s82, 0xffffff                               // 000000007C6C: 8652FF52 00FFFFFF
	s_cmp_lt_u32 s82, s66                                      // 000000007C74: BF0A4252
	s_cselect_b32 s20, s36, s60                                // 000000007C78: 85143C24
	v_readlane_b32 s82, v3, 3                                  // 000000007C7C: D2890052 00010703
	s_and_b32 s82, s82, 0xffffff                               // 000000007C84: 8652FF52 00FFFFFF
	s_cmp_lt_u32 s82, s66                                      // 000000007C8C: BF0A4252
	s_cselect_b32 s21, s36, s60                                // 000000007C90: 85153C24
	s_mov_b64 exec, s[20:21]                                   // 000000007C94: BEFE0114
	buffer_store_dword v69, v6, s[8:11], 0 offen               // 000000007C98: E0701000 80024506
	s_mov_b64 exec, s[36:37]                                   // 000000007CA0: BEFE0124
	v_mov_b32_e32 v6, v54                                      // 000000007CA4: 7E0C0336
	s_mov_b64 s[60:61], 0                                      // 000000007CA8: BEBC0180
	v_readlane_b32 s82, v3, 4                                  // 000000007CAC: D2890052 00010903
	s_and_b32 s82, s82, 0xffffff                               // 000000007CB4: 8652FF52 00FFFFFF
	s_cmp_lt_u32 s82, s66                                      // 000000007CBC: BF0A4252
	s_cselect_b32 s20, s36, s60                                // 000000007CC0: 85143C24
	v_readlane_b32 s82, v3, 5                                  // 000000007CC4: D2890052 00010B03
	s_and_b32 s82, s82, 0xffffff                               // 000000007CCC: 8652FF52 00FFFFFF
	s_cmp_lt_u32 s82, s66                                      // 000000007CD4: BF0A4252
	s_cselect_b32 s21, s36, s60                                // 000000007CD8: 85153C24
	s_mov_b64 exec, s[20:21]                                   // 000000007CDC: BEFE0114
	buffer_store_dword v70, v6, s[8:11], 0 offen               // 000000007CE0: E0701000 80024606
	s_mov_b64 exec, s[36:37]                                   // 000000007CE8: BEFE0124
	v_mov_b32_e32 v6, v55                                      // 000000007CEC: 7E0C0337
	s_mov_b64 s[60:61], 0                                      // 000000007CF0: BEBC0180
	v_readlane_b32 s82, v3, 6                                  // 000000007CF4: D2890052 00010D03
	s_and_b32 s82, s82, 0xffffff                               // 000000007CFC: 8652FF52 00FFFFFF
	s_cmp_lt_u32 s82, s66                                      // 000000007D04: BF0A4252
	s_cselect_b32 s20, s36, s60                                // 000000007D08: 85143C24
	v_readlane_b32 s82, v3, 7                                  // 000000007D0C: D2890052 00010F03
	s_and_b32 s82, s82, 0xffffff                               // 000000007D14: 8652FF52 00FFFFFF
	s_cmp_lt_u32 s82, s66                                      // 000000007D1C: BF0A4252
	s_cselect_b32 s21, s36, s60                                // 000000007D20: 85153C24
	s_mov_b64 exec, s[20:21]                                   // 000000007D24: BEFE0114
	buffer_store_dword v71, v6, s[8:11], 0 offen               // 000000007D28: E0701000 80024706
	s_mov_b64 exec, s[36:37]                                   // 000000007D30: BEFE0124
	v_mov_b32_e32 v6, v56                                      // 000000007D34: 7E0C0338
	s_mov_b64 s[60:61], 0                                      // 000000007D38: BEBC0180
	v_readlane_b32 s82, v3, 8                                  // 000000007D3C: D2890052 00011103
	s_and_b32 s82, s82, 0xffffff                               // 000000007D44: 8652FF52 00FFFFFF
	s_cmp_lt_u32 s82, s66                                      // 000000007D4C: BF0A4252
	s_cselect_b32 s20, s36, s60                                // 000000007D50: 85143C24
	v_readlane_b32 s82, v3, 9                                  // 000000007D54: D2890052 00011303
	s_and_b32 s82, s82, 0xffffff                               // 000000007D5C: 8652FF52 00FFFFFF
	s_cmp_lt_u32 s82, s66                                      // 000000007D64: BF0A4252
	s_cselect_b32 s21, s36, s60                                // 000000007D68: 85153C24
	s_mov_b64 exec, s[20:21]                                   // 000000007D6C: BEFE0114
	buffer_store_dword v72, v6, s[8:11], 0 offen               // 000000007D70: E0701000 80024806
	s_mov_b64 exec, s[36:37]                                   // 000000007D78: BEFE0124
	v_mov_b32_e32 v6, v57                                      // 000000007D7C: 7E0C0339
	s_mov_b64 s[60:61], 0                                      // 000000007D80: BEBC0180
	v_readlane_b32 s82, v3, 10                                 // 000000007D84: D2890052 00011503
	s_and_b32 s82, s82, 0xffffff                               // 000000007D8C: 8652FF52 00FFFFFF
	s_cmp_lt_u32 s82, s66                                      // 000000007D94: BF0A4252
	s_cselect_b32 s20, s36, s60                                // 000000007D98: 85143C24
	v_readlane_b32 s82, v3, 11                                 // 000000007D9C: D2890052 00011703
	s_and_b32 s82, s82, 0xffffff                               // 000000007DA4: 8652FF52 00FFFFFF
	s_cmp_lt_u32 s82, s66                                      // 000000007DAC: BF0A4252
	s_cselect_b32 s21, s36, s60                                // 000000007DB0: 85153C24
	s_mov_b64 exec, s[20:21]                                   // 000000007DB4: BEFE0114
	buffer_store_dword v73, v6, s[8:11], 0 offen               // 000000007DB8: E0701000 80024906
	s_mov_b64 exec, s[36:37]                                   // 000000007DC0: BEFE0124
	v_mov_b32_e32 v6, v58                                      // 000000007DC4: 7E0C033A
	s_mov_b64 s[60:61], 0                                      // 000000007DC8: BEBC0180
	v_readlane_b32 s82, v3, 12                                 // 000000007DCC: D2890052 00011903
	s_and_b32 s82, s82, 0xffffff                               // 000000007DD4: 8652FF52 00FFFFFF
	s_cmp_lt_u32 s82, s66                                      // 000000007DDC: BF0A4252
	s_cselect_b32 s20, s36, s60                                // 000000007DE0: 85143C24
	v_readlane_b32 s82, v3, 13                                 // 000000007DE4: D2890052 00011B03
	s_and_b32 s82, s82, 0xffffff                               // 000000007DEC: 8652FF52 00FFFFFF
	s_cmp_lt_u32 s82, s66                                      // 000000007DF4: BF0A4252
	s_cselect_b32 s21, s36, s60                                // 000000007DF8: 85153C24
	s_mov_b64 exec, s[20:21]                                   // 000000007DFC: BEFE0114
	buffer_store_dword v74, v6, s[8:11], 0 offen               // 000000007E00: E0701000 80024A06
	s_mov_b64 exec, s[36:37]                                   // 000000007E08: BEFE0124
	v_mov_b32_e32 v6, v59                                      // 000000007E0C: 7E0C033B
	s_mov_b64 s[60:61], 0                                      // 000000007E10: BEBC0180
	v_readlane_b32 s82, v3, 14                                 // 000000007E14: D2890052 00011D03
	s_and_b32 s82, s82, 0xffffff                               // 000000007E1C: 8652FF52 00FFFFFF
	s_cmp_lt_u32 s82, s66                                      // 000000007E24: BF0A4252
	s_cselect_b32 s20, s36, s60                                // 000000007E28: 85143C24
	v_readlane_b32 s82, v3, 15                                 // 000000007E2C: D2890052 00011F03
	s_and_b32 s82, s82, 0xffffff                               // 000000007E34: 8652FF52 00FFFFFF
	s_cmp_lt_u32 s82, s66                                      // 000000007E3C: BF0A4252
	s_cselect_b32 s21, s36, s60                                // 000000007E40: 85153C24
	s_mov_b64 exec, s[20:21]                                   // 000000007E44: BEFE0114
	buffer_store_dword v75, v6, s[8:11], 0 offen               // 000000007E48: E0701000 80024B06
	s_mov_b64 exec, s[36:37]                                   // 000000007E50: BEFE0124
	v_mov_b32_e32 v6, v60                                      // 000000007E54: 7E0C033C
	s_mov_b64 s[60:61], 0                                      // 000000007E58: BEBC0180
	v_readlane_b32 s82, v3, 16                                 // 000000007E5C: D2890052 00012103
	s_and_b32 s82, s82, 0xffffff                               // 000000007E64: 8652FF52 00FFFFFF
	s_cmp_lt_u32 s82, s66                                      // 000000007E6C: BF0A4252
	s_cselect_b32 s20, s36, s60                                // 000000007E70: 85143C24
	v_readlane_b32 s82, v3, 17                                 // 000000007E74: D2890052 00012303
	s_and_b32 s82, s82, 0xffffff                               // 000000007E7C: 8652FF52 00FFFFFF
	s_cmp_lt_u32 s82, s66                                      // 000000007E84: BF0A4252
	s_cselect_b32 s21, s36, s60                                // 000000007E88: 85153C24
	s_mov_b64 exec, s[20:21]                                   // 000000007E8C: BEFE0114
	buffer_store_dword v76, v6, s[8:11], 0 offen               // 000000007E90: E0701000 80024C06
	s_mov_b64 exec, s[36:37]                                   // 000000007E98: BEFE0124
	v_mov_b32_e32 v6, v61                                      // 000000007E9C: 7E0C033D
	s_mov_b64 s[60:61], 0                                      // 000000007EA0: BEBC0180
	v_readlane_b32 s82, v3, 18                                 // 000000007EA4: D2890052 00012503
	s_and_b32 s82, s82, 0xffffff                               // 000000007EAC: 8652FF52 00FFFFFF
	s_cmp_lt_u32 s82, s66                                      // 000000007EB4: BF0A4252
	s_cselect_b32 s20, s36, s60                                // 000000007EB8: 85143C24
	v_readlane_b32 s82, v3, 19                                 // 000000007EBC: D2890052 00012703
	s_and_b32 s82, s82, 0xffffff                               // 000000007EC4: 8652FF52 00FFFFFF
	s_cmp_lt_u32 s82, s66                                      // 000000007ECC: BF0A4252
	s_cselect_b32 s21, s36, s60                                // 000000007ED0: 85153C24
	s_mov_b64 exec, s[20:21]                                   // 000000007ED4: BEFE0114
	buffer_store_dword v77, v6, s[8:11], 0 offen               // 000000007ED8: E0701000 80024D06
	s_mov_b64 exec, s[36:37]                                   // 000000007EE0: BEFE0124
	v_mov_b32_e32 v6, v62                                      // 000000007EE4: 7E0C033E
	s_mov_b64 s[60:61], 0                                      // 000000007EE8: BEBC0180
	v_readlane_b32 s82, v3, 20                                 // 000000007EEC: D2890052 00012903
	s_and_b32 s82, s82, 0xffffff                               // 000000007EF4: 8652FF52 00FFFFFF
	s_cmp_lt_u32 s82, s66                                      // 000000007EFC: BF0A4252
	s_cselect_b32 s20, s36, s60                                // 000000007F00: 85143C24
	v_readlane_b32 s82, v3, 21                                 // 000000007F04: D2890052 00012B03
	s_and_b32 s82, s82, 0xffffff                               // 000000007F0C: 8652FF52 00FFFFFF
	s_cmp_lt_u32 s82, s66                                      // 000000007F14: BF0A4252
	s_cselect_b32 s21, s36, s60                                // 000000007F18: 85153C24
	s_mov_b64 exec, s[20:21]                                   // 000000007F1C: BEFE0114
	buffer_store_dword v78, v6, s[8:11], 0 offen               // 000000007F20: E0701000 80024E06
	s_mov_b64 exec, s[36:37]                                   // 000000007F28: BEFE0124
	v_mov_b32_e32 v6, v63                                      // 000000007F2C: 7E0C033F
	s_mov_b64 s[60:61], 0                                      // 000000007F30: BEBC0180
	v_readlane_b32 s82, v3, 22                                 // 000000007F34: D2890052 00012D03
	s_and_b32 s82, s82, 0xffffff                               // 000000007F3C: 8652FF52 00FFFFFF
	s_cmp_lt_u32 s82, s66                                      // 000000007F44: BF0A4252
	s_cselect_b32 s20, s36, s60                                // 000000007F48: 85143C24
	v_readlane_b32 s82, v3, 23                                 // 000000007F4C: D2890052 00012F03
	s_and_b32 s82, s82, 0xffffff                               // 000000007F54: 8652FF52 00FFFFFF
	s_cmp_lt_u32 s82, s66                                      // 000000007F5C: BF0A4252
	s_cselect_b32 s21, s36, s60                                // 000000007F60: 85153C24
	s_mov_b64 exec, s[20:21]                                   // 000000007F64: BEFE0114
	buffer_store_dword v79, v6, s[8:11], 0 offen               // 000000007F68: E0701000 80024F06
	s_mov_b64 exec, s[36:37]                                   // 000000007F70: BEFE0124
	s_branch label_1A83                                        // 000000007F74: BF820522

0000000000007f78 <label_1561>:
	ds_write_b64 v20, v[68:69]                                 // 000000007F78: D89A0000 00004414
	ds_write_b64 v20, v[72:73] offset:2176                     // 000000007F80: D89A0880 00004814
	ds_write_b64 v20, v[76:77] offset:4352                     // 000000007F88: D89A1100 00004C14
	ds_write_b64 v20, v[80:81] offset:6528                     // 000000007F90: D89A1980 00005014
	ds_write_b64 v20, v[84:85] offset:8704                     // 000000007F98: D89A2200 00005414
	ds_write_b64 v20, v[88:89] offset:10880                    // 000000007FA0: D89A2A80 00005814
	v_lshrrev_b32_e32 v4, 5, v0                                // 000000007FA8: 20080085
	v_xor_b32_e32 v5, 1, v4                                    // 000000007FAC: 2A0A0881
	s_mul_i32 s60, s65, 2                                      // 000000007FB0: 923C8241
	s_cmp_eq_u32 s88, 0                                        // 000000007FB4: BF068058
	s_cselect_b32 s61, 1, 4                                    // 000000007FB8: 853D8481
	s_mul_i32 s60, s61, s60                                    // 000000007FBC: 923C3C3D
	v_readlane_b32 s82, v3, 0                                  // 000000007FC0: D2890052 00010103
	s_lshr_b32 s61, s82, 24                                    // 000000007FC8: 8F3D9852
	s_and_b32 s82, s82, 0xffffff                               // 000000007FCC: 8652FF52 00FFFFFF
	s_mul_i32 s82, s82, s71                                    // 000000007FD4: 92524752
	s_mul_i32 s61, s60, s61                                    // 000000007FD8: 923D3D3C
	s_add_u32 s82, s82, s61                                    // 000000007FDC: 80523D52
	v_mul_lo_u32 v6, v5, s82                                   // 000000007FE0: D2850006 0000A505
	v_readlane_b32 s82, v3, 1                                  // 000000007FE8: D2890052 00010303
	s_lshr_b32 s61, s82, 24                                    // 000000007FF0: 8F3D9852
	s_and_b32 s82, s82, 0xffffff                               // 000000007FF4: 8652FF52 00FFFFFF
	s_mul_i32 s82, s82, s71                                    // 000000007FFC: 92524752
	s_mul_i32 s61, s60, s61                                    // 000000008000: 923D3D3C
	s_add_u32 s82, s82, s61                                    // 000000008004: 80523D52
	v_mul_lo_u32 v7, v4, s82                                   // 000000008008: D2850007 0000A504
	v_add_u32_e32 v52, v6, v7                                  // 000000008010: 68680F06
	v_readlane_b32 s82, v3, 2                                  // 000000008014: D2890052 00010503
	s_lshr_b32 s61, s82, 24                                    // 00000000801C: 8F3D9852
	s_and_b32 s82, s82, 0xffffff                               // 000000008020: 8652FF52 00FFFFFF
	s_mul_i32 s82, s82, s71                                    // 000000008028: 92524752
	s_mul_i32 s61, s60, s61                                    // 00000000802C: 923D3D3C
	s_add_u32 s82, s82, s61                                    // 000000008030: 80523D52
	v_mul_lo_u32 v6, v5, s82                                   // 000000008034: D2850006 0000A505
	v_readlane_b32 s82, v3, 3                                  // 00000000803C: D2890052 00010703
	s_lshr_b32 s61, s82, 24                                    // 000000008044: 8F3D9852
	s_and_b32 s82, s82, 0xffffff                               // 000000008048: 8652FF52 00FFFFFF
	s_mul_i32 s82, s82, s71                                    // 000000008050: 92524752
	s_mul_i32 s61, s60, s61                                    // 000000008054: 923D3D3C
	s_add_u32 s82, s82, s61                                    // 000000008058: 80523D52
	v_mul_lo_u32 v7, v4, s82                                   // 00000000805C: D2850007 0000A504
	v_add_u32_e32 v53, v6, v7                                  // 000000008064: 686A0F06
	v_readlane_b32 s82, v3, 4                                  // 000000008068: D2890052 00010903
	s_lshr_b32 s61, s82, 24                                    // 000000008070: 8F3D9852
	s_and_b32 s82, s82, 0xffffff                               // 000000008074: 8652FF52 00FFFFFF
	s_mul_i32 s82, s82, s71                                    // 00000000807C: 92524752
	s_mul_i32 s61, s60, s61                                    // 000000008080: 923D3D3C
	s_add_u32 s82, s82, s61                                    // 000000008084: 80523D52
	v_mul_lo_u32 v6, v5, s82                                   // 000000008088: D2850006 0000A505
	v_readlane_b32 s82, v3, 5                                  // 000000008090: D2890052 00010B03
	s_lshr_b32 s61, s82, 24                                    // 000000008098: 8F3D9852
	s_and_b32 s82, s82, 0xffffff                               // 00000000809C: 8652FF52 00FFFFFF
	s_mul_i32 s82, s82, s71                                    // 0000000080A4: 92524752
	s_mul_i32 s61, s60, s61                                    // 0000000080A8: 923D3D3C
	s_add_u32 s82, s82, s61                                    // 0000000080AC: 80523D52
	v_mul_lo_u32 v7, v4, s82                                   // 0000000080B0: D2850007 0000A504
	v_add_u32_e32 v54, v6, v7                                  // 0000000080B8: 686C0F06
	v_readlane_b32 s82, v3, 6                                  // 0000000080BC: D2890052 00010D03
	s_lshr_b32 s61, s82, 24                                    // 0000000080C4: 8F3D9852
	s_and_b32 s82, s82, 0xffffff                               // 0000000080C8: 8652FF52 00FFFFFF
	s_mul_i32 s82, s82, s71                                    // 0000000080D0: 92524752
	s_mul_i32 s61, s60, s61                                    // 0000000080D4: 923D3D3C
	s_add_u32 s82, s82, s61                                    // 0000000080D8: 80523D52
	v_mul_lo_u32 v6, v5, s82                                   // 0000000080DC: D2850006 0000A505
	v_readlane_b32 s82, v3, 7                                  // 0000000080E4: D2890052 00010F03
	s_lshr_b32 s61, s82, 24                                    // 0000000080EC: 8F3D9852
	s_and_b32 s82, s82, 0xffffff                               // 0000000080F0: 8652FF52 00FFFFFF
	s_mul_i32 s82, s82, s71                                    // 0000000080F8: 92524752
	s_mul_i32 s61, s60, s61                                    // 0000000080FC: 923D3D3C
	s_add_u32 s82, s82, s61                                    // 000000008100: 80523D52
	v_mul_lo_u32 v7, v4, s82                                   // 000000008104: D2850007 0000A504
	v_add_u32_e32 v55, v6, v7                                  // 00000000810C: 686E0F06
	v_readlane_b32 s82, v3, 8                                  // 000000008110: D2890052 00011103
	s_lshr_b32 s61, s82, 24                                    // 000000008118: 8F3D9852
	s_and_b32 s82, s82, 0xffffff                               // 00000000811C: 8652FF52 00FFFFFF
	s_mul_i32 s82, s82, s71                                    // 000000008124: 92524752
	s_mul_i32 s61, s60, s61                                    // 000000008128: 923D3D3C
	s_add_u32 s82, s82, s61                                    // 00000000812C: 80523D52
	v_mul_lo_u32 v6, v5, s82                                   // 000000008130: D2850006 0000A505
	v_readlane_b32 s82, v3, 9                                  // 000000008138: D2890052 00011303
	s_lshr_b32 s61, s82, 24                                    // 000000008140: 8F3D9852
	s_and_b32 s82, s82, 0xffffff                               // 000000008144: 8652FF52 00FFFFFF
	s_mul_i32 s82, s82, s71                                    // 00000000814C: 92524752
	s_mul_i32 s61, s60, s61                                    // 000000008150: 923D3D3C
	s_add_u32 s82, s82, s61                                    // 000000008154: 80523D52
	v_mul_lo_u32 v7, v4, s82                                   // 000000008158: D2850007 0000A504
	v_add_u32_e32 v56, v6, v7                                  // 000000008160: 68700F06
	v_readlane_b32 s82, v3, 10                                 // 000000008164: D2890052 00011503
	s_lshr_b32 s61, s82, 24                                    // 00000000816C: 8F3D9852
	s_and_b32 s82, s82, 0xffffff                               // 000000008170: 8652FF52 00FFFFFF
	s_mul_i32 s82, s82, s71                                    // 000000008178: 92524752
	s_mul_i32 s61, s60, s61                                    // 00000000817C: 923D3D3C
	s_add_u32 s82, s82, s61                                    // 000000008180: 80523D52
	v_mul_lo_u32 v6, v5, s82                                   // 000000008184: D2850006 0000A505
	v_readlane_b32 s82, v3, 11                                 // 00000000818C: D2890052 00011703
	s_lshr_b32 s61, s82, 24                                    // 000000008194: 8F3D9852
	s_and_b32 s82, s82, 0xffffff                               // 000000008198: 8652FF52 00FFFFFF
	s_mul_i32 s82, s82, s71                                    // 0000000081A0: 92524752
	s_mul_i32 s61, s60, s61                                    // 0000000081A4: 923D3D3C
	s_add_u32 s82, s82, s61                                    // 0000000081A8: 80523D52
	v_mul_lo_u32 v7, v4, s82                                   // 0000000081AC: D2850007 0000A504
	v_add_u32_e32 v57, v6, v7                                  // 0000000081B4: 68720F06
	v_readlane_b32 s82, v3, 12                                 // 0000000081B8: D2890052 00011903
	s_lshr_b32 s61, s82, 24                                    // 0000000081C0: 8F3D9852
	s_and_b32 s82, s82, 0xffffff                               // 0000000081C4: 8652FF52 00FFFFFF
	s_mul_i32 s82, s82, s71                                    // 0000000081CC: 92524752
	s_mul_i32 s61, s60, s61                                    // 0000000081D0: 923D3D3C
	s_add_u32 s82, s82, s61                                    // 0000000081D4: 80523D52
	v_mul_lo_u32 v6, v5, s82                                   // 0000000081D8: D2850006 0000A505
	v_readlane_b32 s82, v3, 13                                 // 0000000081E0: D2890052 00011B03
	s_lshr_b32 s61, s82, 24                                    // 0000000081E8: 8F3D9852
	s_and_b32 s82, s82, 0xffffff                               // 0000000081EC: 8652FF52 00FFFFFF
	s_mul_i32 s82, s82, s71                                    // 0000000081F4: 92524752
	s_mul_i32 s61, s60, s61                                    // 0000000081F8: 923D3D3C
	s_add_u32 s82, s82, s61                                    // 0000000081FC: 80523D52
	v_mul_lo_u32 v7, v4, s82                                   // 000000008200: D2850007 0000A504
	v_add_u32_e32 v58, v6, v7                                  // 000000008208: 68740F06
	v_readlane_b32 s82, v3, 14                                 // 00000000820C: D2890052 00011D03
	s_lshr_b32 s61, s82, 24                                    // 000000008214: 8F3D9852
	s_and_b32 s82, s82, 0xffffff                               // 000000008218: 8652FF52 00FFFFFF
	s_mul_i32 s82, s82, s71                                    // 000000008220: 92524752
	s_mul_i32 s61, s60, s61                                    // 000000008224: 923D3D3C
	s_add_u32 s82, s82, s61                                    // 000000008228: 80523D52
	v_mul_lo_u32 v6, v5, s82                                   // 00000000822C: D2850006 0000A505
	v_readlane_b32 s82, v3, 15                                 // 000000008234: D2890052 00011F03
	s_lshr_b32 s61, s82, 24                                    // 00000000823C: 8F3D9852
	s_and_b32 s82, s82, 0xffffff                               // 000000008240: 8652FF52 00FFFFFF
	s_mul_i32 s82, s82, s71                                    // 000000008248: 92524752
	s_mul_i32 s61, s60, s61                                    // 00000000824C: 923D3D3C
	s_add_u32 s82, s82, s61                                    // 000000008250: 80523D52
	v_mul_lo_u32 v7, v4, s82                                   // 000000008254: D2850007 0000A504
	v_add_u32_e32 v59, v6, v7                                  // 00000000825C: 68760F06
	v_readlane_b32 s82, v3, 16                                 // 000000008260: D2890052 00012103
	s_lshr_b32 s61, s82, 24                                    // 000000008268: 8F3D9852
	s_and_b32 s82, s82, 0xffffff                               // 00000000826C: 8652FF52 00FFFFFF
	s_mul_i32 s82, s82, s71                                    // 000000008274: 92524752
	s_mul_i32 s61, s60, s61                                    // 000000008278: 923D3D3C
	s_add_u32 s82, s82, s61                                    // 00000000827C: 80523D52
	v_mul_lo_u32 v6, v5, s82                                   // 000000008280: D2850006 0000A505
	v_readlane_b32 s82, v3, 17                                 // 000000008288: D2890052 00012303
	s_lshr_b32 s61, s82, 24                                    // 000000008290: 8F3D9852
	s_and_b32 s82, s82, 0xffffff                               // 000000008294: 8652FF52 00FFFFFF
	s_mul_i32 s82, s82, s71                                    // 00000000829C: 92524752
	s_mul_i32 s61, s60, s61                                    // 0000000082A0: 923D3D3C
	s_add_u32 s82, s82, s61                                    // 0000000082A4: 80523D52
	v_mul_lo_u32 v7, v4, s82                                   // 0000000082A8: D2850007 0000A504
	v_add_u32_e32 v60, v6, v7                                  // 0000000082B0: 68780F06
	v_readlane_b32 s82, v3, 18                                 // 0000000082B4: D2890052 00012503
	s_lshr_b32 s61, s82, 24                                    // 0000000082BC: 8F3D9852
	s_and_b32 s82, s82, 0xffffff                               // 0000000082C0: 8652FF52 00FFFFFF
	s_mul_i32 s82, s82, s71                                    // 0000000082C8: 92524752
	s_mul_i32 s61, s60, s61                                    // 0000000082CC: 923D3D3C
	s_add_u32 s82, s82, s61                                    // 0000000082D0: 80523D52
	v_mul_lo_u32 v6, v5, s82                                   // 0000000082D4: D2850006 0000A505
	v_readlane_b32 s82, v3, 19                                 // 0000000082DC: D2890052 00012703
	s_lshr_b32 s61, s82, 24                                    // 0000000082E4: 8F3D9852
	s_and_b32 s82, s82, 0xffffff                               // 0000000082E8: 8652FF52 00FFFFFF
	s_mul_i32 s82, s82, s71                                    // 0000000082F0: 92524752
	s_mul_i32 s61, s60, s61                                    // 0000000082F4: 923D3D3C
	s_add_u32 s82, s82, s61                                    // 0000000082F8: 80523D52
	v_mul_lo_u32 v7, v4, s82                                   // 0000000082FC: D2850007 0000A504
	v_add_u32_e32 v61, v6, v7                                  // 000000008304: 687A0F06
	v_readlane_b32 s82, v3, 20                                 // 000000008308: D2890052 00012903
	s_lshr_b32 s61, s82, 24                                    // 000000008310: 8F3D9852
	s_and_b32 s82, s82, 0xffffff                               // 000000008314: 8652FF52 00FFFFFF
	s_mul_i32 s82, s82, s71                                    // 00000000831C: 92524752
	s_mul_i32 s61, s60, s61                                    // 000000008320: 923D3D3C
	s_add_u32 s82, s82, s61                                    // 000000008324: 80523D52
	v_mul_lo_u32 v6, v5, s82                                   // 000000008328: D2850006 0000A505
	v_readlane_b32 s82, v3, 21                                 // 000000008330: D2890052 00012B03
	s_lshr_b32 s61, s82, 24                                    // 000000008338: 8F3D9852
	s_and_b32 s82, s82, 0xffffff                               // 00000000833C: 8652FF52 00FFFFFF
	s_mul_i32 s82, s82, s71                                    // 000000008344: 92524752
	s_mul_i32 s61, s60, s61                                    // 000000008348: 923D3D3C
	s_add_u32 s82, s82, s61                                    // 00000000834C: 80523D52
	v_mul_lo_u32 v7, v4, s82                                   // 000000008350: D2850007 0000A504
	v_add_u32_e32 v62, v6, v7                                  // 000000008358: 687C0F06
	v_readlane_b32 s82, v3, 22                                 // 00000000835C: D2890052 00012D03
	s_lshr_b32 s61, s82, 24                                    // 000000008364: 8F3D9852
	s_and_b32 s82, s82, 0xffffff                               // 000000008368: 8652FF52 00FFFFFF
	s_mul_i32 s82, s82, s71                                    // 000000008370: 92524752
	s_mul_i32 s61, s60, s61                                    // 000000008374: 923D3D3C
	s_add_u32 s82, s82, s61                                    // 000000008378: 80523D52
	v_mul_lo_u32 v6, v5, s82                                   // 00000000837C: D2850006 0000A505
	v_readlane_b32 s82, v3, 23                                 // 000000008384: D2890052 00012F03
	s_lshr_b32 s61, s82, 24                                    // 00000000838C: 8F3D9852
	s_and_b32 s82, s82, 0xffffff                               // 000000008390: 8652FF52 00FFFFFF
	s_mul_i32 s82, s82, s71                                    // 000000008398: 92524752
	s_mul_i32 s61, s60, s61                                    // 00000000839C: 923D3D3C
	s_add_u32 s82, s82, s61                                    // 0000000083A0: 80523D52
	v_mul_lo_u32 v7, v4, s82                                   // 0000000083A4: D2850007 0000A504
	v_add_u32_e32 v63, v6, v7                                  // 0000000083AC: 687E0F06
	v_and_b32_e32 v4, 31, v0                                   // 0000000083B0: 2608009F
	v_lshrrev_b32_e32 v4, 1, v4                                // 0000000083B4: 20080881
	s_cmp_eq_u32 s88, 0                                        // 0000000083B8: BF068058
	s_cselect_b32 s61, 2, 4                                    // 0000000083BC: 853D8482
	v_mul_lo_u32 v4, v4, s61                                   // 0000000083C0: D2850004 00007B04
	v_and_b32_e64 v5, v0, 1                                    // 0000000083C8: D1130005 00010300
	v_add_u32_e32 v4, v4, v5                                   // 0000000083D0: 68080B04
	v_lshlrev_b32_e32 v4, 2, v4                                // 0000000083D4: 24080882
	v_add_u32_e32 v52, v52, v4                                 // 0000000083D8: 68680934
	v_add_u32_e32 v53, v53, v4                                 // 0000000083DC: 686A0935
	v_add_u32_e32 v54, v54, v4                                 // 0000000083E0: 686C0936
	v_add_u32_e32 v55, v55, v4                                 // 0000000083E4: 686E0937
	v_add_u32_e32 v56, v56, v4                                 // 0000000083E8: 68700938
	v_add_u32_e32 v57, v57, v4                                 // 0000000083EC: 68720939
	v_add_u32_e32 v58, v58, v4                                 // 0000000083F0: 6874093A
	v_add_u32_e32 v59, v59, v4                                 // 0000000083F4: 6876093B
	v_add_u32_e32 v60, v60, v4                                 // 0000000083F8: 6878093C
	v_add_u32_e32 v61, v61, v4                                 // 0000000083FC: 687A093D
	v_add_u32_e32 v62, v62, v4                                 // 000000008400: 687C093E
	v_add_u32_e32 v63, v63, v4                                 // 000000008404: 687E093F
	s_waitcnt lgkmcnt(0)                                       // 000000008408: BF8CC07F
	s_barrier                                                  // 00000000840C: BF8A0000
	ds_read_b32 v68, v21                                       // 000000008410: D86C0000 44000015
	ds_read_b32 v69, v21 offset:64                             // 000000008418: D86C0040 45000015
	ds_read_b32 v72, v21 offset:2176                           // 000000008420: D86C0880 48000015
	ds_read_b32 v73, v21 offset:2240                           // 000000008428: D86C08C0 49000015
	ds_read_b32 v76, v21 offset:4352                           // 000000008430: D86C1100 4C000015
	ds_read_b32 v77, v21 offset:4416                           // 000000008438: D86C1140 4D000015
	ds_read_b32 v80, v21 offset:6528                           // 000000008440: D86C1980 50000015
	ds_read_b32 v81, v21 offset:6592                           // 000000008448: D86C19C0 51000015
	ds_read_b32 v84, v21 offset:8704                           // 000000008450: D86C2200 54000015
	ds_read_b32 v85, v21 offset:8768                           // 000000008458: D86C2240 55000015
	ds_read_b32 v88, v21 offset:10880                          // 000000008460: D86C2A80 58000015
	ds_read_b32 v89, v21 offset:10944                          // 000000008468: D86C2AC0 59000015
	s_waitcnt lgkmcnt(0)                                       // 000000008470: BF8CC07F
	s_mov_b32 s36, -1                                          // 000000008474: BEA400C1
	s_mov_b32 s37, -1                                          // 000000008478: BEA500C1
	v_mov_b32_e32 v7, 0                                        // 00000000847C: 7E0E0280
	s_mov_b64 exec, s[36:37]                                   // 000000008480: BEFE0124
	v_mov_b32_e32 v6, v52                                      // 000000008484: 7E0C0334
	s_mov_b64 s[60:61], 0                                      // 000000008488: BEBC0180
	v_readlane_b32 s82, v3, 0                                  // 00000000848C: D2890052 00010103
	s_and_b32 s82, s82, 0xffffff                               // 000000008494: 8652FF52 00FFFFFF
	s_cmp_lt_u32 s82, s66                                      // 00000000849C: BF0A4252
	s_cselect_b32 s20, s36, s60                                // 0000000084A0: 85143C24
	v_readlane_b32 s82, v3, 1                                  // 0000000084A4: D2890052 00010303
	s_and_b32 s82, s82, 0xffffff                               // 0000000084AC: 8652FF52 00FFFFFF
	s_cmp_lt_u32 s82, s66                                      // 0000000084B4: BF0A4252
	s_cselect_b32 s21, s36, s60                                // 0000000084B8: 85153C24
	s_mov_b64 exec, s[20:21]                                   // 0000000084BC: BEFE0114
	global_atomic_add_f32 v6, v68, s[8:9]                      // 0000000084C0: DD348000 00084406
	s_mov_b64 exec, s[36:37]                                   // 0000000084C8: BEFE0124
	v_mov_b32_e32 v6, v53                                      // 0000000084CC: 7E0C0335
	s_mov_b64 s[60:61], 0                                      // 0000000084D0: BEBC0180
	v_readlane_b32 s82, v3, 2                                  // 0000000084D4: D2890052 00010503
	s_and_b32 s82, s82, 0xffffff                               // 0000000084DC: 8652FF52 00FFFFFF
	s_cmp_lt_u32 s82, s66                                      // 0000000084E4: BF0A4252
	s_cselect_b32 s20, s36, s60                                // 0000000084E8: 85143C24
	v_readlane_b32 s82, v3, 3                                  // 0000000084EC: D2890052 00010703
	s_and_b32 s82, s82, 0xffffff                               // 0000000084F4: 8652FF52 00FFFFFF
	s_cmp_lt_u32 s82, s66                                      // 0000000084FC: BF0A4252
	s_cselect_b32 s21, s36, s60                                // 000000008500: 85153C24
	s_mov_b64 exec, s[20:21]                                   // 000000008504: BEFE0114
	global_atomic_add_f32 v6, v69, s[8:9]                      // 000000008508: DD348000 00084506
	s_mov_b64 exec, s[36:37]                                   // 000000008510: BEFE0124
	v_mov_b32_e32 v6, v54                                      // 000000008514: 7E0C0336
	s_mov_b64 s[60:61], 0                                      // 000000008518: BEBC0180
	v_readlane_b32 s82, v3, 4                                  // 00000000851C: D2890052 00010903
	s_and_b32 s82, s82, 0xffffff                               // 000000008524: 8652FF52 00FFFFFF
	s_cmp_lt_u32 s82, s66                                      // 00000000852C: BF0A4252
	s_cselect_b32 s20, s36, s60                                // 000000008530: 85143C24
	v_readlane_b32 s82, v3, 5                                  // 000000008534: D2890052 00010B03
	s_and_b32 s82, s82, 0xffffff                               // 00000000853C: 8652FF52 00FFFFFF
	s_cmp_lt_u32 s82, s66                                      // 000000008544: BF0A4252
	s_cselect_b32 s21, s36, s60                                // 000000008548: 85153C24
	s_mov_b64 exec, s[20:21]                                   // 00000000854C: BEFE0114
	global_atomic_add_f32 v6, v72, s[8:9]                      // 000000008550: DD348000 00084806
	s_mov_b64 exec, s[36:37]                                   // 000000008558: BEFE0124
	v_mov_b32_e32 v6, v55                                      // 00000000855C: 7E0C0337
	s_mov_b64 s[60:61], 0                                      // 000000008560: BEBC0180
	v_readlane_b32 s82, v3, 6                                  // 000000008564: D2890052 00010D03
	s_and_b32 s82, s82, 0xffffff                               // 00000000856C: 8652FF52 00FFFFFF
	s_cmp_lt_u32 s82, s66                                      // 000000008574: BF0A4252
	s_cselect_b32 s20, s36, s60                                // 000000008578: 85143C24
	v_readlane_b32 s82, v3, 7                                  // 00000000857C: D2890052 00010F03
	s_and_b32 s82, s82, 0xffffff                               // 000000008584: 8652FF52 00FFFFFF
	s_cmp_lt_u32 s82, s66                                      // 00000000858C: BF0A4252
	s_cselect_b32 s21, s36, s60                                // 000000008590: 85153C24
	s_mov_b64 exec, s[20:21]                                   // 000000008594: BEFE0114
	global_atomic_add_f32 v6, v73, s[8:9]                      // 000000008598: DD348000 00084906
	s_mov_b64 exec, s[36:37]                                   // 0000000085A0: BEFE0124
	v_mov_b32_e32 v6, v56                                      // 0000000085A4: 7E0C0338
	s_mov_b64 s[60:61], 0                                      // 0000000085A8: BEBC0180
	v_readlane_b32 s82, v3, 8                                  // 0000000085AC: D2890052 00011103
	s_and_b32 s82, s82, 0xffffff                               // 0000000085B4: 8652FF52 00FFFFFF
	s_cmp_lt_u32 s82, s66                                      // 0000000085BC: BF0A4252
	s_cselect_b32 s20, s36, s60                                // 0000000085C0: 85143C24
	v_readlane_b32 s82, v3, 9                                  // 0000000085C4: D2890052 00011303
	s_and_b32 s82, s82, 0xffffff                               // 0000000085CC: 8652FF52 00FFFFFF
	s_cmp_lt_u32 s82, s66                                      // 0000000085D4: BF0A4252
	s_cselect_b32 s21, s36, s60                                // 0000000085D8: 85153C24
	s_mov_b64 exec, s[20:21]                                   // 0000000085DC: BEFE0114
	global_atomic_add_f32 v6, v76, s[8:9]                      // 0000000085E0: DD348000 00084C06
	s_mov_b64 exec, s[36:37]                                   // 0000000085E8: BEFE0124
	v_mov_b32_e32 v6, v57                                      // 0000000085EC: 7E0C0339
	s_mov_b64 s[60:61], 0                                      // 0000000085F0: BEBC0180
	v_readlane_b32 s82, v3, 10                                 // 0000000085F4: D2890052 00011503
	s_and_b32 s82, s82, 0xffffff                               // 0000000085FC: 8652FF52 00FFFFFF
	s_cmp_lt_u32 s82, s66                                      // 000000008604: BF0A4252
	s_cselect_b32 s20, s36, s60                                // 000000008608: 85143C24
	v_readlane_b32 s82, v3, 11                                 // 00000000860C: D2890052 00011703
	s_and_b32 s82, s82, 0xffffff                               // 000000008614: 8652FF52 00FFFFFF
	s_cmp_lt_u32 s82, s66                                      // 00000000861C: BF0A4252
	s_cselect_b32 s21, s36, s60                                // 000000008620: 85153C24
	s_mov_b64 exec, s[20:21]                                   // 000000008624: BEFE0114
	global_atomic_add_f32 v6, v77, s[8:9]                      // 000000008628: DD348000 00084D06
	s_mov_b64 exec, s[36:37]                                   // 000000008630: BEFE0124
	v_mov_b32_e32 v6, v58                                      // 000000008634: 7E0C033A
	s_mov_b64 s[60:61], 0                                      // 000000008638: BEBC0180
	v_readlane_b32 s82, v3, 12                                 // 00000000863C: D2890052 00011903
	s_and_b32 s82, s82, 0xffffff                               // 000000008644: 8652FF52 00FFFFFF
	s_cmp_lt_u32 s82, s66                                      // 00000000864C: BF0A4252
	s_cselect_b32 s20, s36, s60                                // 000000008650: 85143C24
	v_readlane_b32 s82, v3, 13                                 // 000000008654: D2890052 00011B03
	s_and_b32 s82, s82, 0xffffff                               // 00000000865C: 8652FF52 00FFFFFF
	s_cmp_lt_u32 s82, s66                                      // 000000008664: BF0A4252
	s_cselect_b32 s21, s36, s60                                // 000000008668: 85153C24
	s_mov_b64 exec, s[20:21]                                   // 00000000866C: BEFE0114
	global_atomic_add_f32 v6, v80, s[8:9]                      // 000000008670: DD348000 00085006
	s_mov_b64 exec, s[36:37]                                   // 000000008678: BEFE0124
	v_mov_b32_e32 v6, v59                                      // 00000000867C: 7E0C033B
	s_mov_b64 s[60:61], 0                                      // 000000008680: BEBC0180
	v_readlane_b32 s82, v3, 14                                 // 000000008684: D2890052 00011D03
	s_and_b32 s82, s82, 0xffffff                               // 00000000868C: 8652FF52 00FFFFFF
	s_cmp_lt_u32 s82, s66                                      // 000000008694: BF0A4252
	s_cselect_b32 s20, s36, s60                                // 000000008698: 85143C24
	v_readlane_b32 s82, v3, 15                                 // 00000000869C: D2890052 00011F03
	s_and_b32 s82, s82, 0xffffff                               // 0000000086A4: 8652FF52 00FFFFFF
	s_cmp_lt_u32 s82, s66                                      // 0000000086AC: BF0A4252
	s_cselect_b32 s21, s36, s60                                // 0000000086B0: 85153C24
	s_mov_b64 exec, s[20:21]                                   // 0000000086B4: BEFE0114
	global_atomic_add_f32 v6, v81, s[8:9]                      // 0000000086B8: DD348000 00085106
	s_mov_b64 exec, s[36:37]                                   // 0000000086C0: BEFE0124
	v_mov_b32_e32 v6, v60                                      // 0000000086C4: 7E0C033C
	s_mov_b64 s[60:61], 0                                      // 0000000086C8: BEBC0180
	v_readlane_b32 s82, v3, 16                                 // 0000000086CC: D2890052 00012103
	s_and_b32 s82, s82, 0xffffff                               // 0000000086D4: 8652FF52 00FFFFFF
	s_cmp_lt_u32 s82, s66                                      // 0000000086DC: BF0A4252
	s_cselect_b32 s20, s36, s60                                // 0000000086E0: 85143C24
	v_readlane_b32 s82, v3, 17                                 // 0000000086E4: D2890052 00012303
	s_and_b32 s82, s82, 0xffffff                               // 0000000086EC: 8652FF52 00FFFFFF
	s_cmp_lt_u32 s82, s66                                      // 0000000086F4: BF0A4252
	s_cselect_b32 s21, s36, s60                                // 0000000086F8: 85153C24
	s_mov_b64 exec, s[20:21]                                   // 0000000086FC: BEFE0114
	global_atomic_add_f32 v6, v84, s[8:9]                      // 000000008700: DD348000 00085406
	s_mov_b64 exec, s[36:37]                                   // 000000008708: BEFE0124
	v_mov_b32_e32 v6, v61                                      // 00000000870C: 7E0C033D
	s_mov_b64 s[60:61], 0                                      // 000000008710: BEBC0180
	v_readlane_b32 s82, v3, 18                                 // 000000008714: D2890052 00012503
	s_and_b32 s82, s82, 0xffffff                               // 00000000871C: 8652FF52 00FFFFFF
	s_cmp_lt_u32 s82, s66                                      // 000000008724: BF0A4252
	s_cselect_b32 s20, s36, s60                                // 000000008728: 85143C24
	v_readlane_b32 s82, v3, 19                                 // 00000000872C: D2890052 00012703
	s_and_b32 s82, s82, 0xffffff                               // 000000008734: 8652FF52 00FFFFFF
	s_cmp_lt_u32 s82, s66                                      // 00000000873C: BF0A4252
	s_cselect_b32 s21, s36, s60                                // 000000008740: 85153C24
	s_mov_b64 exec, s[20:21]                                   // 000000008744: BEFE0114
	global_atomic_add_f32 v6, v85, s[8:9]                      // 000000008748: DD348000 00085506
	s_mov_b64 exec, s[36:37]                                   // 000000008750: BEFE0124
	v_mov_b32_e32 v6, v62                                      // 000000008754: 7E0C033E
	s_mov_b64 s[60:61], 0                                      // 000000008758: BEBC0180
	v_readlane_b32 s82, v3, 20                                 // 00000000875C: D2890052 00012903
	s_and_b32 s82, s82, 0xffffff                               // 000000008764: 8652FF52 00FFFFFF
	s_cmp_lt_u32 s82, s66                                      // 00000000876C: BF0A4252
	s_cselect_b32 s20, s36, s60                                // 000000008770: 85143C24
	v_readlane_b32 s82, v3, 21                                 // 000000008774: D2890052 00012B03
	s_and_b32 s82, s82, 0xffffff                               // 00000000877C: 8652FF52 00FFFFFF
	s_cmp_lt_u32 s82, s66                                      // 000000008784: BF0A4252
	s_cselect_b32 s21, s36, s60                                // 000000008788: 85153C24
	s_mov_b64 exec, s[20:21]                                   // 00000000878C: BEFE0114
	global_atomic_add_f32 v6, v88, s[8:9]                      // 000000008790: DD348000 00085806
	s_mov_b64 exec, s[36:37]                                   // 000000008798: BEFE0124
	v_mov_b32_e32 v6, v63                                      // 00000000879C: 7E0C033F
	s_mov_b64 s[60:61], 0                                      // 0000000087A0: BEBC0180
	v_readlane_b32 s82, v3, 22                                 // 0000000087A4: D2890052 00012D03
	s_and_b32 s82, s82, 0xffffff                               // 0000000087AC: 8652FF52 00FFFFFF
	s_cmp_lt_u32 s82, s66                                      // 0000000087B4: BF0A4252
	s_cselect_b32 s20, s36, s60                                // 0000000087B8: 85143C24
	v_readlane_b32 s82, v3, 23                                 // 0000000087BC: D2890052 00012F03
	s_and_b32 s82, s82, 0xffffff                               // 0000000087C4: 8652FF52 00FFFFFF
	s_cmp_lt_u32 s82, s66                                      // 0000000087CC: BF0A4252
	s_cselect_b32 s21, s36, s60                                // 0000000087D0: 85153C24
	s_mov_b64 exec, s[20:21]                                   // 0000000087D4: BEFE0114
	global_atomic_add_f32 v6, v89, s[8:9]                      // 0000000087D8: DD348000 00085906
	s_mov_b64 exec, s[36:37]                                   // 0000000087E0: BEFE0124
	ds_write_b64 v20, v[70:71]                                 // 0000000087E4: D89A0000 00004614
	ds_write_b64 v20, v[74:75] offset:2176                     // 0000000087EC: D89A0880 00004A14
	ds_write_b64 v20, v[78:79] offset:4352                     // 0000000087F4: D89A1100 00004E14
	ds_write_b64 v20, v[82:83] offset:6528                     // 0000000087FC: D89A1980 00005214
	ds_write_b64 v20, v[86:87] offset:8704                     // 000000008804: D89A2200 00005614
	ds_write_b64 v20, v[90:91] offset:10880                    // 00000000880C: D89A2A80 00005A14
	s_waitcnt lgkmcnt(0)                                       // 000000008814: BF8CC07F
	s_barrier                                                  // 000000008818: BF8A0000
	ds_read_b32 v70, v21                                       // 00000000881C: D86C0000 46000015
	ds_read_b32 v71, v21 offset:64                             // 000000008824: D86C0040 47000015
	ds_read_b32 v74, v21 offset:2176                           // 00000000882C: D86C0880 4A000015
	ds_read_b32 v75, v21 offset:2240                           // 000000008834: D86C08C0 4B000015
	ds_read_b32 v78, v21 offset:4352                           // 00000000883C: D86C1100 4E000015
	ds_read_b32 v79, v21 offset:4416                           // 000000008844: D86C1140 4F000015
	ds_read_b32 v82, v21 offset:6528                           // 00000000884C: D86C1980 52000015
	ds_read_b32 v83, v21 offset:6592                           // 000000008854: D86C19C0 53000015
	ds_read_b32 v86, v21 offset:8704                           // 00000000885C: D86C2200 56000015
	ds_read_b32 v87, v21 offset:8768                           // 000000008864: D86C2240 57000015
	ds_read_b32 v90, v21 offset:10880                          // 00000000886C: D86C2A80 5A000015
	ds_read_b32 v91, v21 offset:10944                          // 000000008874: D86C2AC0 5B000015
	s_waitcnt lgkmcnt(0)                                       // 00000000887C: BF8CC07F
	v_mov_b32_e32 v7, 0                                        // 000000008880: 7E0E0280
	s_mov_b64 exec, s[36:37]                                   // 000000008884: BEFE0124
	v_mov_b32_e32 v6, v52                                      // 000000008888: 7E0C0334
	s_mov_b64 s[60:61], 0                                      // 00000000888C: BEBC0180
	v_readlane_b32 s82, v3, 0                                  // 000000008890: D2890052 00010103
	s_and_b32 s82, s82, 0xffffff                               // 000000008898: 8652FF52 00FFFFFF
	s_cmp_lt_u32 s82, s66                                      // 0000000088A0: BF0A4252
	s_cselect_b32 s20, s36, s60                                // 0000000088A4: 85143C24
	v_readlane_b32 s82, v3, 1                                  // 0000000088A8: D2890052 00010303
	s_and_b32 s82, s82, 0xffffff                               // 0000000088B0: 8652FF52 00FFFFFF
	s_cmp_lt_u32 s82, s66                                      // 0000000088B8: BF0A4252
	s_cselect_b32 s21, s36, s60                                // 0000000088BC: 85153C24
	s_mov_b64 exec, s[20:21]                                   // 0000000088C0: BEFE0114
	global_atomic_add_f32 v6, v70, s[8:9] offset:8             // 0000000088C4: DD348008 00084606
	s_mov_b64 exec, s[36:37]                                   // 0000000088CC: BEFE0124
	v_mov_b32_e32 v6, v53                                      // 0000000088D0: 7E0C0335
	s_mov_b64 s[60:61], 0                                      // 0000000088D4: BEBC0180
	v_readlane_b32 s82, v3, 2                                  // 0000000088D8: D2890052 00010503
	s_and_b32 s82, s82, 0xffffff                               // 0000000088E0: 8652FF52 00FFFFFF
	s_cmp_lt_u32 s82, s66                                      // 0000000088E8: BF0A4252
	s_cselect_b32 s20, s36, s60                                // 0000000088EC: 85143C24
	v_readlane_b32 s82, v3, 3                                  // 0000000088F0: D2890052 00010703
	s_and_b32 s82, s82, 0xffffff                               // 0000000088F8: 8652FF52 00FFFFFF
	s_cmp_lt_u32 s82, s66                                      // 000000008900: BF0A4252
	s_cselect_b32 s21, s36, s60                                // 000000008904: 85153C24
	s_mov_b64 exec, s[20:21]                                   // 000000008908: BEFE0114
	global_atomic_add_f32 v6, v71, s[8:9] offset:8             // 00000000890C: DD348008 00084706
	s_mov_b64 exec, s[36:37]                                   // 000000008914: BEFE0124
	v_mov_b32_e32 v6, v54                                      // 000000008918: 7E0C0336
	s_mov_b64 s[60:61], 0                                      // 00000000891C: BEBC0180
	v_readlane_b32 s82, v3, 4                                  // 000000008920: D2890052 00010903
	s_and_b32 s82, s82, 0xffffff                               // 000000008928: 8652FF52 00FFFFFF
	s_cmp_lt_u32 s82, s66                                      // 000000008930: BF0A4252
	s_cselect_b32 s20, s36, s60                                // 000000008934: 85143C24
	v_readlane_b32 s82, v3, 5                                  // 000000008938: D2890052 00010B03
	s_and_b32 s82, s82, 0xffffff                               // 000000008940: 8652FF52 00FFFFFF
	s_cmp_lt_u32 s82, s66                                      // 000000008948: BF0A4252
	s_cselect_b32 s21, s36, s60                                // 00000000894C: 85153C24
	s_mov_b64 exec, s[20:21]                                   // 000000008950: BEFE0114
	global_atomic_add_f32 v6, v74, s[8:9] offset:8             // 000000008954: DD348008 00084A06
	s_mov_b64 exec, s[36:37]                                   // 00000000895C: BEFE0124
	v_mov_b32_e32 v6, v55                                      // 000000008960: 7E0C0337
	s_mov_b64 s[60:61], 0                                      // 000000008964: BEBC0180
	v_readlane_b32 s82, v3, 6                                  // 000000008968: D2890052 00010D03
	s_and_b32 s82, s82, 0xffffff                               // 000000008970: 8652FF52 00FFFFFF
	s_cmp_lt_u32 s82, s66                                      // 000000008978: BF0A4252
	s_cselect_b32 s20, s36, s60                                // 00000000897C: 85143C24
	v_readlane_b32 s82, v3, 7                                  // 000000008980: D2890052 00010F03
	s_and_b32 s82, s82, 0xffffff                               // 000000008988: 8652FF52 00FFFFFF
	s_cmp_lt_u32 s82, s66                                      // 000000008990: BF0A4252
	s_cselect_b32 s21, s36, s60                                // 000000008994: 85153C24
	s_mov_b64 exec, s[20:21]                                   // 000000008998: BEFE0114
	global_atomic_add_f32 v6, v75, s[8:9] offset:8             // 00000000899C: DD348008 00084B06
	s_mov_b64 exec, s[36:37]                                   // 0000000089A4: BEFE0124
	v_mov_b32_e32 v6, v56                                      // 0000000089A8: 7E0C0338
	s_mov_b64 s[60:61], 0                                      // 0000000089AC: BEBC0180
	v_readlane_b32 s82, v3, 8                                  // 0000000089B0: D2890052 00011103
	s_and_b32 s82, s82, 0xffffff                               // 0000000089B8: 8652FF52 00FFFFFF
	s_cmp_lt_u32 s82, s66                                      // 0000000089C0: BF0A4252
	s_cselect_b32 s20, s36, s60                                // 0000000089C4: 85143C24
	v_readlane_b32 s82, v3, 9                                  // 0000000089C8: D2890052 00011303
	s_and_b32 s82, s82, 0xffffff                               // 0000000089D0: 8652FF52 00FFFFFF
	s_cmp_lt_u32 s82, s66                                      // 0000000089D8: BF0A4252
	s_cselect_b32 s21, s36, s60                                // 0000000089DC: 85153C24
	s_mov_b64 exec, s[20:21]                                   // 0000000089E0: BEFE0114
	global_atomic_add_f32 v6, v78, s[8:9] offset:8             // 0000000089E4: DD348008 00084E06
	s_mov_b64 exec, s[36:37]                                   // 0000000089EC: BEFE0124
	v_mov_b32_e32 v6, v57                                      // 0000000089F0: 7E0C0339
	s_mov_b64 s[60:61], 0                                      // 0000000089F4: BEBC0180
	v_readlane_b32 s82, v3, 10                                 // 0000000089F8: D2890052 00011503
	s_and_b32 s82, s82, 0xffffff                               // 000000008A00: 8652FF52 00FFFFFF
	s_cmp_lt_u32 s82, s66                                      // 000000008A08: BF0A4252
	s_cselect_b32 s20, s36, s60                                // 000000008A0C: 85143C24
	v_readlane_b32 s82, v3, 11                                 // 000000008A10: D2890052 00011703
	s_and_b32 s82, s82, 0xffffff                               // 000000008A18: 8652FF52 00FFFFFF
	s_cmp_lt_u32 s82, s66                                      // 000000008A20: BF0A4252
	s_cselect_b32 s21, s36, s60                                // 000000008A24: 85153C24
	s_mov_b64 exec, s[20:21]                                   // 000000008A28: BEFE0114
	global_atomic_add_f32 v6, v79, s[8:9] offset:8             // 000000008A2C: DD348008 00084F06
	s_mov_b64 exec, s[36:37]                                   // 000000008A34: BEFE0124
	v_mov_b32_e32 v6, v58                                      // 000000008A38: 7E0C033A
	s_mov_b64 s[60:61], 0                                      // 000000008A3C: BEBC0180
	v_readlane_b32 s82, v3, 12                                 // 000000008A40: D2890052 00011903
	s_and_b32 s82, s82, 0xffffff                               // 000000008A48: 8652FF52 00FFFFFF
	s_cmp_lt_u32 s82, s66                                      // 000000008A50: BF0A4252
	s_cselect_b32 s20, s36, s60                                // 000000008A54: 85143C24
	v_readlane_b32 s82, v3, 13                                 // 000000008A58: D2890052 00011B03
	s_and_b32 s82, s82, 0xffffff                               // 000000008A60: 8652FF52 00FFFFFF
	s_cmp_lt_u32 s82, s66                                      // 000000008A68: BF0A4252
	s_cselect_b32 s21, s36, s60                                // 000000008A6C: 85153C24
	s_mov_b64 exec, s[20:21]                                   // 000000008A70: BEFE0114
	global_atomic_add_f32 v6, v82, s[8:9] offset:8             // 000000008A74: DD348008 00085206
	s_mov_b64 exec, s[36:37]                                   // 000000008A7C: BEFE0124
	v_mov_b32_e32 v6, v59                                      // 000000008A80: 7E0C033B
	s_mov_b64 s[60:61], 0                                      // 000000008A84: BEBC0180
	v_readlane_b32 s82, v3, 14                                 // 000000008A88: D2890052 00011D03
	s_and_b32 s82, s82, 0xffffff                               // 000000008A90: 8652FF52 00FFFFFF
	s_cmp_lt_u32 s82, s66                                      // 000000008A98: BF0A4252
	s_cselect_b32 s20, s36, s60                                // 000000008A9C: 85143C24
	v_readlane_b32 s82, v3, 15                                 // 000000008AA0: D2890052 00011F03
	s_and_b32 s82, s82, 0xffffff                               // 000000008AA8: 8652FF52 00FFFFFF
	s_cmp_lt_u32 s82, s66                                      // 000000008AB0: BF0A4252
	s_cselect_b32 s21, s36, s60                                // 000000008AB4: 85153C24
	s_mov_b64 exec, s[20:21]                                   // 000000008AB8: BEFE0114
	global_atomic_add_f32 v6, v83, s[8:9] offset:8             // 000000008ABC: DD348008 00085306
	s_mov_b64 exec, s[36:37]                                   // 000000008AC4: BEFE0124
	v_mov_b32_e32 v6, v60                                      // 000000008AC8: 7E0C033C
	s_mov_b64 s[60:61], 0                                      // 000000008ACC: BEBC0180
	v_readlane_b32 s82, v3, 16                                 // 000000008AD0: D2890052 00012103
	s_and_b32 s82, s82, 0xffffff                               // 000000008AD8: 8652FF52 00FFFFFF
	s_cmp_lt_u32 s82, s66                                      // 000000008AE0: BF0A4252
	s_cselect_b32 s20, s36, s60                                // 000000008AE4: 85143C24
	v_readlane_b32 s82, v3, 17                                 // 000000008AE8: D2890052 00012303
	s_and_b32 s82, s82, 0xffffff                               // 000000008AF0: 8652FF52 00FFFFFF
	s_cmp_lt_u32 s82, s66                                      // 000000008AF8: BF0A4252
	s_cselect_b32 s21, s36, s60                                // 000000008AFC: 85153C24
	s_mov_b64 exec, s[20:21]                                   // 000000008B00: BEFE0114
	global_atomic_add_f32 v6, v86, s[8:9] offset:8             // 000000008B04: DD348008 00085606
	s_mov_b64 exec, s[36:37]                                   // 000000008B0C: BEFE0124
	v_mov_b32_e32 v6, v61                                      // 000000008B10: 7E0C033D
	s_mov_b64 s[60:61], 0                                      // 000000008B14: BEBC0180
	v_readlane_b32 s82, v3, 18                                 // 000000008B18: D2890052 00012503
	s_and_b32 s82, s82, 0xffffff                               // 000000008B20: 8652FF52 00FFFFFF
	s_cmp_lt_u32 s82, s66                                      // 000000008B28: BF0A4252
	s_cselect_b32 s20, s36, s60                                // 000000008B2C: 85143C24
	v_readlane_b32 s82, v3, 19                                 // 000000008B30: D2890052 00012703
	s_and_b32 s82, s82, 0xffffff                               // 000000008B38: 8652FF52 00FFFFFF
	s_cmp_lt_u32 s82, s66                                      // 000000008B40: BF0A4252
	s_cselect_b32 s21, s36, s60                                // 000000008B44: 85153C24
	s_mov_b64 exec, s[20:21]                                   // 000000008B48: BEFE0114
	global_atomic_add_f32 v6, v87, s[8:9] offset:8             // 000000008B4C: DD348008 00085706
	s_mov_b64 exec, s[36:37]                                   // 000000008B54: BEFE0124
	v_mov_b32_e32 v6, v62                                      // 000000008B58: 7E0C033E
	s_mov_b64 s[60:61], 0                                      // 000000008B5C: BEBC0180
	v_readlane_b32 s82, v3, 20                                 // 000000008B60: D2890052 00012903
	s_and_b32 s82, s82, 0xffffff                               // 000000008B68: 8652FF52 00FFFFFF
	s_cmp_lt_u32 s82, s66                                      // 000000008B70: BF0A4252
	s_cselect_b32 s20, s36, s60                                // 000000008B74: 85143C24
	v_readlane_b32 s82, v3, 21                                 // 000000008B78: D2890052 00012B03
	s_and_b32 s82, s82, 0xffffff                               // 000000008B80: 8652FF52 00FFFFFF
	s_cmp_lt_u32 s82, s66                                      // 000000008B88: BF0A4252
	s_cselect_b32 s21, s36, s60                                // 000000008B8C: 85153C24
	s_mov_b64 exec, s[20:21]                                   // 000000008B90: BEFE0114
	global_atomic_add_f32 v6, v90, s[8:9] offset:8             // 000000008B94: DD348008 00085A06
	s_mov_b64 exec, s[36:37]                                   // 000000008B9C: BEFE0124
	v_mov_b32_e32 v6, v63                                      // 000000008BA0: 7E0C033F
	s_mov_b64 s[60:61], 0                                      // 000000008BA4: BEBC0180
	v_readlane_b32 s82, v3, 22                                 // 000000008BA8: D2890052 00012D03
	s_and_b32 s82, s82, 0xffffff                               // 000000008BB0: 8652FF52 00FFFFFF
	s_cmp_lt_u32 s82, s66                                      // 000000008BB8: BF0A4252
	s_cselect_b32 s20, s36, s60                                // 000000008BBC: 85143C24
	v_readlane_b32 s82, v3, 23                                 // 000000008BC0: D2890052 00012F03
	s_and_b32 s82, s82, 0xffffff                               // 000000008BC8: 8652FF52 00FFFFFF
	s_cmp_lt_u32 s82, s66                                      // 000000008BD0: BF0A4252
	s_cselect_b32 s21, s36, s60                                // 000000008BD4: 85153C24
	s_mov_b64 exec, s[20:21]                                   // 000000008BD8: BEFE0114
	global_atomic_add_f32 v6, v91, s[8:9] offset:8             // 000000008BDC: DD348008 00085B06
	s_mov_b64 exec, s[36:37]                                   // 000000008BE4: BEFE0124
	ds_write_b64 v20, v[92:93]                                 // 000000008BE8: D89A0000 00005C14
	ds_write_b64 v20, v[96:97] offset:2176                     // 000000008BF0: D89A0880 00006014
	ds_write_b64 v20, v[100:101] offset:4352                   // 000000008BF8: D89A1100 00006414
	ds_write_b64 v20, v[104:105] offset:6528                   // 000000008C00: D89A1980 00006814
	ds_write_b64 v20, v[108:109] offset:8704                   // 000000008C08: D89A2200 00006C14
	ds_write_b64 v20, v[112:113] offset:10880                  // 000000008C10: D89A2A80 00007014
	s_waitcnt lgkmcnt(0)                                       // 000000008C18: BF8CC07F
	s_barrier                                                  // 000000008C1C: BF8A0000
	ds_read_b32 v92, v21                                       // 000000008C20: D86C0000 5C000015
	ds_read_b32 v93, v21 offset:64                             // 000000008C28: D86C0040 5D000015
	ds_read_b32 v96, v21 offset:2176                           // 000000008C30: D86C0880 60000015
	ds_read_b32 v97, v21 offset:2240                           // 000000008C38: D86C08C0 61000015
	ds_read_b32 v100, v21 offset:4352                          // 000000008C40: D86C1100 64000015
	ds_read_b32 v101, v21 offset:4416                          // 000000008C48: D86C1140 65000015
	ds_read_b32 v104, v21 offset:6528                          // 000000008C50: D86C1980 68000015
	ds_read_b32 v105, v21 offset:6592                          // 000000008C58: D86C19C0 69000015
	ds_read_b32 v108, v21 offset:8704                          // 000000008C60: D86C2200 6C000015
	ds_read_b32 v109, v21 offset:8768                          // 000000008C68: D86C2240 6D000015
	ds_read_b32 v112, v21 offset:10880                         // 000000008C70: D86C2A80 70000015
	ds_read_b32 v113, v21 offset:10944                         // 000000008C78: D86C2AC0 71000015
	s_mul_i32 s60, s65, 4                                      // 000000008C80: 923C8441
	s_add_u32 s8, s60, s8                                      // 000000008C84: 8008083C
	s_addc_u32 s9, 0, s9                                       // 000000008C88: 82090980
	s_waitcnt lgkmcnt(0)                                       // 000000008C8C: BF8CC07F
	v_mov_b32_e32 v7, 0                                        // 000000008C90: 7E0E0280
	s_mov_b64 exec, s[36:37]                                   // 000000008C94: BEFE0124
	v_mov_b32_e32 v6, v52                                      // 000000008C98: 7E0C0334
	s_mov_b64 s[60:61], 0                                      // 000000008C9C: BEBC0180
	v_readlane_b32 s82, v3, 0                                  // 000000008CA0: D2890052 00010103
	s_and_b32 s82, s82, 0xffffff                               // 000000008CA8: 8652FF52 00FFFFFF
	s_cmp_lt_u32 s82, s66                                      // 000000008CB0: BF0A4252
	s_cselect_b32 s20, s36, s60                                // 000000008CB4: 85143C24
	v_readlane_b32 s82, v3, 1                                  // 000000008CB8: D2890052 00010303
	s_and_b32 s82, s82, 0xffffff                               // 000000008CC0: 8652FF52 00FFFFFF
	s_cmp_lt_u32 s82, s66                                      // 000000008CC8: BF0A4252
	s_cselect_b32 s21, s36, s60                                // 000000008CCC: 85153C24
	s_mov_b64 exec, s[20:21]                                   // 000000008CD0: BEFE0114
	global_atomic_add_f32 v6, v92, s[8:9]                      // 000000008CD4: DD348000 00085C06
	s_mov_b64 exec, s[36:37]                                   // 000000008CDC: BEFE0124
	v_mov_b32_e32 v6, v53                                      // 000000008CE0: 7E0C0335
	s_mov_b64 s[60:61], 0                                      // 000000008CE4: BEBC0180
	v_readlane_b32 s82, v3, 2                                  // 000000008CE8: D2890052 00010503
	s_and_b32 s82, s82, 0xffffff                               // 000000008CF0: 8652FF52 00FFFFFF
	s_cmp_lt_u32 s82, s66                                      // 000000008CF8: BF0A4252
	s_cselect_b32 s20, s36, s60                                // 000000008CFC: 85143C24
	v_readlane_b32 s82, v3, 3                                  // 000000008D00: D2890052 00010703
	s_and_b32 s82, s82, 0xffffff                               // 000000008D08: 8652FF52 00FFFFFF
	s_cmp_lt_u32 s82, s66                                      // 000000008D10: BF0A4252
	s_cselect_b32 s21, s36, s60                                // 000000008D14: 85153C24
	s_mov_b64 exec, s[20:21]                                   // 000000008D18: BEFE0114
	global_atomic_add_f32 v6, v93, s[8:9]                      // 000000008D1C: DD348000 00085D06
	s_mov_b64 exec, s[36:37]                                   // 000000008D24: BEFE0124
	v_mov_b32_e32 v6, v54                                      // 000000008D28: 7E0C0336
	s_mov_b64 s[60:61], 0                                      // 000000008D2C: BEBC0180
	v_readlane_b32 s82, v3, 4                                  // 000000008D30: D2890052 00010903
	s_and_b32 s82, s82, 0xffffff                               // 000000008D38: 8652FF52 00FFFFFF
	s_cmp_lt_u32 s82, s66                                      // 000000008D40: BF0A4252
	s_cselect_b32 s20, s36, s60                                // 000000008D44: 85143C24
	v_readlane_b32 s82, v3, 5                                  // 000000008D48: D2890052 00010B03
	s_and_b32 s82, s82, 0xffffff                               // 000000008D50: 8652FF52 00FFFFFF
	s_cmp_lt_u32 s82, s66                                      // 000000008D58: BF0A4252
	s_cselect_b32 s21, s36, s60                                // 000000008D5C: 85153C24
	s_mov_b64 exec, s[20:21]                                   // 000000008D60: BEFE0114
	global_atomic_add_f32 v6, v96, s[8:9]                      // 000000008D64: DD348000 00086006
	s_mov_b64 exec, s[36:37]                                   // 000000008D6C: BEFE0124
	v_mov_b32_e32 v6, v55                                      // 000000008D70: 7E0C0337
	s_mov_b64 s[60:61], 0                                      // 000000008D74: BEBC0180
	v_readlane_b32 s82, v3, 6                                  // 000000008D78: D2890052 00010D03
	s_and_b32 s82, s82, 0xffffff                               // 000000008D80: 8652FF52 00FFFFFF
	s_cmp_lt_u32 s82, s66                                      // 000000008D88: BF0A4252
	s_cselect_b32 s20, s36, s60                                // 000000008D8C: 85143C24
	v_readlane_b32 s82, v3, 7                                  // 000000008D90: D2890052 00010F03
	s_and_b32 s82, s82, 0xffffff                               // 000000008D98: 8652FF52 00FFFFFF
	s_cmp_lt_u32 s82, s66                                      // 000000008DA0: BF0A4252
	s_cselect_b32 s21, s36, s60                                // 000000008DA4: 85153C24
	s_mov_b64 exec, s[20:21]                                   // 000000008DA8: BEFE0114
	global_atomic_add_f32 v6, v97, s[8:9]                      // 000000008DAC: DD348000 00086106
	s_mov_b64 exec, s[36:37]                                   // 000000008DB4: BEFE0124
	v_mov_b32_e32 v6, v56                                      // 000000008DB8: 7E0C0338
	s_mov_b64 s[60:61], 0                                      // 000000008DBC: BEBC0180
	v_readlane_b32 s82, v3, 8                                  // 000000008DC0: D2890052 00011103
	s_and_b32 s82, s82, 0xffffff                               // 000000008DC8: 8652FF52 00FFFFFF
	s_cmp_lt_u32 s82, s66                                      // 000000008DD0: BF0A4252
	s_cselect_b32 s20, s36, s60                                // 000000008DD4: 85143C24
	v_readlane_b32 s82, v3, 9                                  // 000000008DD8: D2890052 00011303
	s_and_b32 s82, s82, 0xffffff                               // 000000008DE0: 8652FF52 00FFFFFF
	s_cmp_lt_u32 s82, s66                                      // 000000008DE8: BF0A4252
	s_cselect_b32 s21, s36, s60                                // 000000008DEC: 85153C24
	s_mov_b64 exec, s[20:21]                                   // 000000008DF0: BEFE0114
	global_atomic_add_f32 v6, v100, s[8:9]                     // 000000008DF4: DD348000 00086406
	s_mov_b64 exec, s[36:37]                                   // 000000008DFC: BEFE0124
	v_mov_b32_e32 v6, v57                                      // 000000008E00: 7E0C0339
	s_mov_b64 s[60:61], 0                                      // 000000008E04: BEBC0180
	v_readlane_b32 s82, v3, 10                                 // 000000008E08: D2890052 00011503
	s_and_b32 s82, s82, 0xffffff                               // 000000008E10: 8652FF52 00FFFFFF
	s_cmp_lt_u32 s82, s66                                      // 000000008E18: BF0A4252
	s_cselect_b32 s20, s36, s60                                // 000000008E1C: 85143C24
	v_readlane_b32 s82, v3, 11                                 // 000000008E20: D2890052 00011703
	s_and_b32 s82, s82, 0xffffff                               // 000000008E28: 8652FF52 00FFFFFF
	s_cmp_lt_u32 s82, s66                                      // 000000008E30: BF0A4252
	s_cselect_b32 s21, s36, s60                                // 000000008E34: 85153C24
	s_mov_b64 exec, s[20:21]                                   // 000000008E38: BEFE0114
	global_atomic_add_f32 v6, v101, s[8:9]                     // 000000008E3C: DD348000 00086506
	s_mov_b64 exec, s[36:37]                                   // 000000008E44: BEFE0124
	v_mov_b32_e32 v6, v58                                      // 000000008E48: 7E0C033A
	s_mov_b64 s[60:61], 0                                      // 000000008E4C: BEBC0180
	v_readlane_b32 s82, v3, 12                                 // 000000008E50: D2890052 00011903
	s_and_b32 s82, s82, 0xffffff                               // 000000008E58: 8652FF52 00FFFFFF
	s_cmp_lt_u32 s82, s66                                      // 000000008E60: BF0A4252
	s_cselect_b32 s20, s36, s60                                // 000000008E64: 85143C24
	v_readlane_b32 s82, v3, 13                                 // 000000008E68: D2890052 00011B03
	s_and_b32 s82, s82, 0xffffff                               // 000000008E70: 8652FF52 00FFFFFF
	s_cmp_lt_u32 s82, s66                                      // 000000008E78: BF0A4252
	s_cselect_b32 s21, s36, s60                                // 000000008E7C: 85153C24
	s_mov_b64 exec, s[20:21]                                   // 000000008E80: BEFE0114
	global_atomic_add_f32 v6, v104, s[8:9]                     // 000000008E84: DD348000 00086806
	s_mov_b64 exec, s[36:37]                                   // 000000008E8C: BEFE0124
	v_mov_b32_e32 v6, v59                                      // 000000008E90: 7E0C033B
	s_mov_b64 s[60:61], 0                                      // 000000008E94: BEBC0180
	v_readlane_b32 s82, v3, 14                                 // 000000008E98: D2890052 00011D03
	s_and_b32 s82, s82, 0xffffff                               // 000000008EA0: 8652FF52 00FFFFFF
	s_cmp_lt_u32 s82, s66                                      // 000000008EA8: BF0A4252
	s_cselect_b32 s20, s36, s60                                // 000000008EAC: 85143C24
	v_readlane_b32 s82, v3, 15                                 // 000000008EB0: D2890052 00011F03
	s_and_b32 s82, s82, 0xffffff                               // 000000008EB8: 8652FF52 00FFFFFF
	s_cmp_lt_u32 s82, s66                                      // 000000008EC0: BF0A4252
	s_cselect_b32 s21, s36, s60                                // 000000008EC4: 85153C24
	s_mov_b64 exec, s[20:21]                                   // 000000008EC8: BEFE0114
	global_atomic_add_f32 v6, v105, s[8:9]                     // 000000008ECC: DD348000 00086906
	s_mov_b64 exec, s[36:37]                                   // 000000008ED4: BEFE0124
	v_mov_b32_e32 v6, v60                                      // 000000008ED8: 7E0C033C
	s_mov_b64 s[60:61], 0                                      // 000000008EDC: BEBC0180
	v_readlane_b32 s82, v3, 16                                 // 000000008EE0: D2890052 00012103
	s_and_b32 s82, s82, 0xffffff                               // 000000008EE8: 8652FF52 00FFFFFF
	s_cmp_lt_u32 s82, s66                                      // 000000008EF0: BF0A4252
	s_cselect_b32 s20, s36, s60                                // 000000008EF4: 85143C24
	v_readlane_b32 s82, v3, 17                                 // 000000008EF8: D2890052 00012303
	s_and_b32 s82, s82, 0xffffff                               // 000000008F00: 8652FF52 00FFFFFF
	s_cmp_lt_u32 s82, s66                                      // 000000008F08: BF0A4252
	s_cselect_b32 s21, s36, s60                                // 000000008F0C: 85153C24
	s_mov_b64 exec, s[20:21]                                   // 000000008F10: BEFE0114
	global_atomic_add_f32 v6, v108, s[8:9]                     // 000000008F14: DD348000 00086C06
	s_mov_b64 exec, s[36:37]                                   // 000000008F1C: BEFE0124
	v_mov_b32_e32 v6, v61                                      // 000000008F20: 7E0C033D
	s_mov_b64 s[60:61], 0                                      // 000000008F24: BEBC0180
	v_readlane_b32 s82, v3, 18                                 // 000000008F28: D2890052 00012503
	s_and_b32 s82, s82, 0xffffff                               // 000000008F30: 8652FF52 00FFFFFF
	s_cmp_lt_u32 s82, s66                                      // 000000008F38: BF0A4252
	s_cselect_b32 s20, s36, s60                                // 000000008F3C: 85143C24
	v_readlane_b32 s82, v3, 19                                 // 000000008F40: D2890052 00012703
	s_and_b32 s82, s82, 0xffffff                               // 000000008F48: 8652FF52 00FFFFFF
	s_cmp_lt_u32 s82, s66                                      // 000000008F50: BF0A4252
	s_cselect_b32 s21, s36, s60                                // 000000008F54: 85153C24
	s_mov_b64 exec, s[20:21]                                   // 000000008F58: BEFE0114
	global_atomic_add_f32 v6, v109, s[8:9]                     // 000000008F5C: DD348000 00086D06
	s_mov_b64 exec, s[36:37]                                   // 000000008F64: BEFE0124
	v_mov_b32_e32 v6, v62                                      // 000000008F68: 7E0C033E
	s_mov_b64 s[60:61], 0                                      // 000000008F6C: BEBC0180
	v_readlane_b32 s82, v3, 20                                 // 000000008F70: D2890052 00012903
	s_and_b32 s82, s82, 0xffffff                               // 000000008F78: 8652FF52 00FFFFFF
	s_cmp_lt_u32 s82, s66                                      // 000000008F80: BF0A4252
	s_cselect_b32 s20, s36, s60                                // 000000008F84: 85143C24
	v_readlane_b32 s82, v3, 21                                 // 000000008F88: D2890052 00012B03
	s_and_b32 s82, s82, 0xffffff                               // 000000008F90: 8652FF52 00FFFFFF
	s_cmp_lt_u32 s82, s66                                      // 000000008F98: BF0A4252
	s_cselect_b32 s21, s36, s60                                // 000000008F9C: 85153C24
	s_mov_b64 exec, s[20:21]                                   // 000000008FA0: BEFE0114
	global_atomic_add_f32 v6, v112, s[8:9]                     // 000000008FA4: DD348000 00087006
	s_mov_b64 exec, s[36:37]                                   // 000000008FAC: BEFE0124
	v_mov_b32_e32 v6, v63                                      // 000000008FB0: 7E0C033F
	s_mov_b64 s[60:61], 0                                      // 000000008FB4: BEBC0180
	v_readlane_b32 s82, v3, 22                                 // 000000008FB8: D2890052 00012D03
	s_and_b32 s82, s82, 0xffffff                               // 000000008FC0: 8652FF52 00FFFFFF
	s_cmp_lt_u32 s82, s66                                      // 000000008FC8: BF0A4252
	s_cselect_b32 s20, s36, s60                                // 000000008FCC: 85143C24
	v_readlane_b32 s82, v3, 23                                 // 000000008FD0: D2890052 00012F03
	s_and_b32 s82, s82, 0xffffff                               // 000000008FD8: 8652FF52 00FFFFFF
	s_cmp_lt_u32 s82, s66                                      // 000000008FE0: BF0A4252
	s_cselect_b32 s21, s36, s60                                // 000000008FE4: 85153C24
	s_mov_b64 exec, s[20:21]                                   // 000000008FE8: BEFE0114
	global_atomic_add_f32 v6, v113, s[8:9]                     // 000000008FEC: DD348000 00087106
	s_mov_b64 exec, s[36:37]                                   // 000000008FF4: BEFE0124
	ds_write_b64 v20, v[94:95]                                 // 000000008FF8: D89A0000 00005E14
	ds_write_b64 v20, v[98:99] offset:2176                     // 000000009000: D89A0880 00006214
	ds_write_b64 v20, v[102:103] offset:4352                   // 000000009008: D89A1100 00006614
	ds_write_b64 v20, v[106:107] offset:6528                   // 000000009010: D89A1980 00006A14
	ds_write_b64 v20, v[110:111] offset:8704                   // 000000009018: D89A2200 00006E14
	ds_write_b64 v20, v[114:115] offset:10880                  // 000000009020: D89A2A80 00007214
	s_waitcnt lgkmcnt(0)                                       // 000000009028: BF8CC07F
	s_barrier                                                  // 00000000902C: BF8A0000
	ds_read_b32 v94, v21                                       // 000000009030: D86C0000 5E000015
	ds_read_b32 v95, v21 offset:64                             // 000000009038: D86C0040 5F000015
	ds_read_b32 v98, v21 offset:2176                           // 000000009040: D86C0880 62000015
	ds_read_b32 v99, v21 offset:2240                           // 000000009048: D86C08C0 63000015
	ds_read_b32 v102, v21 offset:4352                          // 000000009050: D86C1100 66000015
	ds_read_b32 v103, v21 offset:4416                          // 000000009058: D86C1140 67000015
	ds_read_b32 v106, v21 offset:6528                          // 000000009060: D86C1980 6A000015
	ds_read_b32 v107, v21 offset:6592                          // 000000009068: D86C19C0 6B000015
	ds_read_b32 v110, v21 offset:8704                          // 000000009070: D86C2200 6E000015
	ds_read_b32 v111, v21 offset:8768                          // 000000009078: D86C2240 6F000015
	ds_read_b32 v114, v21 offset:10880                         // 000000009080: D86C2A80 72000015
	ds_read_b32 v115, v21 offset:10944                         // 000000009088: D86C2AC0 73000015
	s_waitcnt lgkmcnt(0)                                       // 000000009090: BF8CC07F
	v_mov_b32_e32 v7, 0                                        // 000000009094: 7E0E0280
	s_mov_b64 exec, s[36:37]                                   // 000000009098: BEFE0124
	v_mov_b32_e32 v6, v52                                      // 00000000909C: 7E0C0334
	s_mov_b64 s[60:61], 0                                      // 0000000090A0: BEBC0180
	v_readlane_b32 s82, v3, 0                                  // 0000000090A4: D2890052 00010103
	s_and_b32 s82, s82, 0xffffff                               // 0000000090AC: 8652FF52 00FFFFFF
	s_cmp_lt_u32 s82, s66                                      // 0000000090B4: BF0A4252
	s_cselect_b32 s20, s36, s60                                // 0000000090B8: 85143C24
	v_readlane_b32 s82, v3, 1                                  // 0000000090BC: D2890052 00010303
	s_and_b32 s82, s82, 0xffffff                               // 0000000090C4: 8652FF52 00FFFFFF
	s_cmp_lt_u32 s82, s66                                      // 0000000090CC: BF0A4252
	s_cselect_b32 s21, s36, s60                                // 0000000090D0: 85153C24
	s_mov_b64 exec, s[20:21]                                   // 0000000090D4: BEFE0114
	global_atomic_add_f32 v6, v94, s[8:9] offset:8             // 0000000090D8: DD348008 00085E06
	s_mov_b64 exec, s[36:37]                                   // 0000000090E0: BEFE0124
	v_mov_b32_e32 v6, v53                                      // 0000000090E4: 7E0C0335
	s_mov_b64 s[60:61], 0                                      // 0000000090E8: BEBC0180
	v_readlane_b32 s82, v3, 2                                  // 0000000090EC: D2890052 00010503
	s_and_b32 s82, s82, 0xffffff                               // 0000000090F4: 8652FF52 00FFFFFF
	s_cmp_lt_u32 s82, s66                                      // 0000000090FC: BF0A4252
	s_cselect_b32 s20, s36, s60                                // 000000009100: 85143C24
	v_readlane_b32 s82, v3, 3                                  // 000000009104: D2890052 00010703
	s_and_b32 s82, s82, 0xffffff                               // 00000000910C: 8652FF52 00FFFFFF
	s_cmp_lt_u32 s82, s66                                      // 000000009114: BF0A4252
	s_cselect_b32 s21, s36, s60                                // 000000009118: 85153C24
	s_mov_b64 exec, s[20:21]                                   // 00000000911C: BEFE0114
	global_atomic_add_f32 v6, v95, s[8:9] offset:8             // 000000009120: DD348008 00085F06
	s_mov_b64 exec, s[36:37]                                   // 000000009128: BEFE0124
	v_mov_b32_e32 v6, v54                                      // 00000000912C: 7E0C0336
	s_mov_b64 s[60:61], 0                                      // 000000009130: BEBC0180
	v_readlane_b32 s82, v3, 4                                  // 000000009134: D2890052 00010903
	s_and_b32 s82, s82, 0xffffff                               // 00000000913C: 8652FF52 00FFFFFF
	s_cmp_lt_u32 s82, s66                                      // 000000009144: BF0A4252
	s_cselect_b32 s20, s36, s60                                // 000000009148: 85143C24
	v_readlane_b32 s82, v3, 5                                  // 00000000914C: D2890052 00010B03
	s_and_b32 s82, s82, 0xffffff                               // 000000009154: 8652FF52 00FFFFFF
	s_cmp_lt_u32 s82, s66                                      // 00000000915C: BF0A4252
	s_cselect_b32 s21, s36, s60                                // 000000009160: 85153C24
	s_mov_b64 exec, s[20:21]                                   // 000000009164: BEFE0114
	global_atomic_add_f32 v6, v98, s[8:9] offset:8             // 000000009168: DD348008 00086206
	s_mov_b64 exec, s[36:37]                                   // 000000009170: BEFE0124
	v_mov_b32_e32 v6, v55                                      // 000000009174: 7E0C0337
	s_mov_b64 s[60:61], 0                                      // 000000009178: BEBC0180
	v_readlane_b32 s82, v3, 6                                  // 00000000917C: D2890052 00010D03
	s_and_b32 s82, s82, 0xffffff                               // 000000009184: 8652FF52 00FFFFFF
	s_cmp_lt_u32 s82, s66                                      // 00000000918C: BF0A4252
	s_cselect_b32 s20, s36, s60                                // 000000009190: 85143C24
	v_readlane_b32 s82, v3, 7                                  // 000000009194: D2890052 00010F03
	s_and_b32 s82, s82, 0xffffff                               // 00000000919C: 8652FF52 00FFFFFF
	s_cmp_lt_u32 s82, s66                                      // 0000000091A4: BF0A4252
	s_cselect_b32 s21, s36, s60                                // 0000000091A8: 85153C24
	s_mov_b64 exec, s[20:21]                                   // 0000000091AC: BEFE0114
	global_atomic_add_f32 v6, v99, s[8:9] offset:8             // 0000000091B0: DD348008 00086306
	s_mov_b64 exec, s[36:37]                                   // 0000000091B8: BEFE0124
	v_mov_b32_e32 v6, v56                                      // 0000000091BC: 7E0C0338
	s_mov_b64 s[60:61], 0                                      // 0000000091C0: BEBC0180
	v_readlane_b32 s82, v3, 8                                  // 0000000091C4: D2890052 00011103
	s_and_b32 s82, s82, 0xffffff                               // 0000000091CC: 8652FF52 00FFFFFF
	s_cmp_lt_u32 s82, s66                                      // 0000000091D4: BF0A4252
	s_cselect_b32 s20, s36, s60                                // 0000000091D8: 85143C24
	v_readlane_b32 s82, v3, 9                                  // 0000000091DC: D2890052 00011303
	s_and_b32 s82, s82, 0xffffff                               // 0000000091E4: 8652FF52 00FFFFFF
	s_cmp_lt_u32 s82, s66                                      // 0000000091EC: BF0A4252
	s_cselect_b32 s21, s36, s60                                // 0000000091F0: 85153C24
	s_mov_b64 exec, s[20:21]                                   // 0000000091F4: BEFE0114
	global_atomic_add_f32 v6, v102, s[8:9] offset:8            // 0000000091F8: DD348008 00086606
	s_mov_b64 exec, s[36:37]                                   // 000000009200: BEFE0124
	v_mov_b32_e32 v6, v57                                      // 000000009204: 7E0C0339
	s_mov_b64 s[60:61], 0                                      // 000000009208: BEBC0180
	v_readlane_b32 s82, v3, 10                                 // 00000000920C: D2890052 00011503
	s_and_b32 s82, s82, 0xffffff                               // 000000009214: 8652FF52 00FFFFFF
	s_cmp_lt_u32 s82, s66                                      // 00000000921C: BF0A4252
	s_cselect_b32 s20, s36, s60                                // 000000009220: 85143C24
	v_readlane_b32 s82, v3, 11                                 // 000000009224: D2890052 00011703
	s_and_b32 s82, s82, 0xffffff                               // 00000000922C: 8652FF52 00FFFFFF
	s_cmp_lt_u32 s82, s66                                      // 000000009234: BF0A4252
	s_cselect_b32 s21, s36, s60                                // 000000009238: 85153C24
	s_mov_b64 exec, s[20:21]                                   // 00000000923C: BEFE0114
	global_atomic_add_f32 v6, v103, s[8:9] offset:8            // 000000009240: DD348008 00086706
	s_mov_b64 exec, s[36:37]                                   // 000000009248: BEFE0124
	v_mov_b32_e32 v6, v58                                      // 00000000924C: 7E0C033A
	s_mov_b64 s[60:61], 0                                      // 000000009250: BEBC0180
	v_readlane_b32 s82, v3, 12                                 // 000000009254: D2890052 00011903
	s_and_b32 s82, s82, 0xffffff                               // 00000000925C: 8652FF52 00FFFFFF
	s_cmp_lt_u32 s82, s66                                      // 000000009264: BF0A4252
	s_cselect_b32 s20, s36, s60                                // 000000009268: 85143C24
	v_readlane_b32 s82, v3, 13                                 // 00000000926C: D2890052 00011B03
	s_and_b32 s82, s82, 0xffffff                               // 000000009274: 8652FF52 00FFFFFF
	s_cmp_lt_u32 s82, s66                                      // 00000000927C: BF0A4252
	s_cselect_b32 s21, s36, s60                                // 000000009280: 85153C24
	s_mov_b64 exec, s[20:21]                                   // 000000009284: BEFE0114
	global_atomic_add_f32 v6, v106, s[8:9] offset:8            // 000000009288: DD348008 00086A06
	s_mov_b64 exec, s[36:37]                                   // 000000009290: BEFE0124
	v_mov_b32_e32 v6, v59                                      // 000000009294: 7E0C033B
	s_mov_b64 s[60:61], 0                                      // 000000009298: BEBC0180
	v_readlane_b32 s82, v3, 14                                 // 00000000929C: D2890052 00011D03
	s_and_b32 s82, s82, 0xffffff                               // 0000000092A4: 8652FF52 00FFFFFF
	s_cmp_lt_u32 s82, s66                                      // 0000000092AC: BF0A4252
	s_cselect_b32 s20, s36, s60                                // 0000000092B0: 85143C24
	v_readlane_b32 s82, v3, 15                                 // 0000000092B4: D2890052 00011F03
	s_and_b32 s82, s82, 0xffffff                               // 0000000092BC: 8652FF52 00FFFFFF
	s_cmp_lt_u32 s82, s66                                      // 0000000092C4: BF0A4252
	s_cselect_b32 s21, s36, s60                                // 0000000092C8: 85153C24
	s_mov_b64 exec, s[20:21]                                   // 0000000092CC: BEFE0114
	global_atomic_add_f32 v6, v107, s[8:9] offset:8            // 0000000092D0: DD348008 00086B06
	s_mov_b64 exec, s[36:37]                                   // 0000000092D8: BEFE0124
	v_mov_b32_e32 v6, v60                                      // 0000000092DC: 7E0C033C
	s_mov_b64 s[60:61], 0                                      // 0000000092E0: BEBC0180
	v_readlane_b32 s82, v3, 16                                 // 0000000092E4: D2890052 00012103
	s_and_b32 s82, s82, 0xffffff                               // 0000000092EC: 8652FF52 00FFFFFF
	s_cmp_lt_u32 s82, s66                                      // 0000000092F4: BF0A4252
	s_cselect_b32 s20, s36, s60                                // 0000000092F8: 85143C24
	v_readlane_b32 s82, v3, 17                                 // 0000000092FC: D2890052 00012303
	s_and_b32 s82, s82, 0xffffff                               // 000000009304: 8652FF52 00FFFFFF
	s_cmp_lt_u32 s82, s66                                      // 00000000930C: BF0A4252
	s_cselect_b32 s21, s36, s60                                // 000000009310: 85153C24
	s_mov_b64 exec, s[20:21]                                   // 000000009314: BEFE0114
	global_atomic_add_f32 v6, v110, s[8:9] offset:8            // 000000009318: DD348008 00086E06
	s_mov_b64 exec, s[36:37]                                   // 000000009320: BEFE0124
	v_mov_b32_e32 v6, v61                                      // 000000009324: 7E0C033D
	s_mov_b64 s[60:61], 0                                      // 000000009328: BEBC0180
	v_readlane_b32 s82, v3, 18                                 // 00000000932C: D2890052 00012503
	s_and_b32 s82, s82, 0xffffff                               // 000000009334: 8652FF52 00FFFFFF
	s_cmp_lt_u32 s82, s66                                      // 00000000933C: BF0A4252
	s_cselect_b32 s20, s36, s60                                // 000000009340: 85143C24
	v_readlane_b32 s82, v3, 19                                 // 000000009344: D2890052 00012703
	s_and_b32 s82, s82, 0xffffff                               // 00000000934C: 8652FF52 00FFFFFF
	s_cmp_lt_u32 s82, s66                                      // 000000009354: BF0A4252
	s_cselect_b32 s21, s36, s60                                // 000000009358: 85153C24
	s_mov_b64 exec, s[20:21]                                   // 00000000935C: BEFE0114
	global_atomic_add_f32 v6, v111, s[8:9] offset:8            // 000000009360: DD348008 00086F06
	s_mov_b64 exec, s[36:37]                                   // 000000009368: BEFE0124
	v_mov_b32_e32 v6, v62                                      // 00000000936C: 7E0C033E
	s_mov_b64 s[60:61], 0                                      // 000000009370: BEBC0180
	v_readlane_b32 s82, v3, 20                                 // 000000009374: D2890052 00012903
	s_and_b32 s82, s82, 0xffffff                               // 00000000937C: 8652FF52 00FFFFFF
	s_cmp_lt_u32 s82, s66                                      // 000000009384: BF0A4252
	s_cselect_b32 s20, s36, s60                                // 000000009388: 85143C24
	v_readlane_b32 s82, v3, 21                                 // 00000000938C: D2890052 00012B03
	s_and_b32 s82, s82, 0xffffff                               // 000000009394: 8652FF52 00FFFFFF
	s_cmp_lt_u32 s82, s66                                      // 00000000939C: BF0A4252
	s_cselect_b32 s21, s36, s60                                // 0000000093A0: 85153C24
	s_mov_b64 exec, s[20:21]                                   // 0000000093A4: BEFE0114
	global_atomic_add_f32 v6, v114, s[8:9] offset:8            // 0000000093A8: DD348008 00087206
	s_mov_b64 exec, s[36:37]                                   // 0000000093B0: BEFE0124
	v_mov_b32_e32 v6, v63                                      // 0000000093B4: 7E0C033F
	s_mov_b64 s[60:61], 0                                      // 0000000093B8: BEBC0180
	v_readlane_b32 s82, v3, 22                                 // 0000000093BC: D2890052 00012D03
	s_and_b32 s82, s82, 0xffffff                               // 0000000093C4: 8652FF52 00FFFFFF
	s_cmp_lt_u32 s82, s66                                      // 0000000093CC: BF0A4252
	s_cselect_b32 s20, s36, s60                                // 0000000093D0: 85143C24
	v_readlane_b32 s82, v3, 23                                 // 0000000093D4: D2890052 00012F03
	s_and_b32 s82, s82, 0xffffff                               // 0000000093DC: 8652FF52 00FFFFFF
	s_cmp_lt_u32 s82, s66                                      // 0000000093E4: BF0A4252
	s_cselect_b32 s21, s36, s60                                // 0000000093E8: 85153C24
	s_mov_b64 exec, s[20:21]                                   // 0000000093EC: BEFE0114
	global_atomic_add_f32 v6, v115, s[8:9] offset:8            // 0000000093F0: DD348008 00087306
	s_mov_b64 exec, s[36:37]                                   // 0000000093F8: BEFE0124
	s_branch label_1A83                                        // 0000000093FC: BF820000

0000000000009400 <label_1A83>:
	s_waitcnt vmcnt(0) expcnt(0) lgkmcnt(0)                    // 000000009400: BF8C0000
	s_endpgm                                                   // 000000009404: BF810000
